;; amdgpu-corpus repo=ROCm/rocFFT kind=compiled arch=gfx1030 opt=O3
	.text
	.amdgcn_target "amdgcn-amd-amdhsa--gfx1030"
	.amdhsa_code_object_version 6
	.protected	bluestein_single_back_len1275_dim1_sp_op_CI_CI ; -- Begin function bluestein_single_back_len1275_dim1_sp_op_CI_CI
	.globl	bluestein_single_back_len1275_dim1_sp_op_CI_CI
	.p2align	8
	.type	bluestein_single_back_len1275_dim1_sp_op_CI_CI,@function
bluestein_single_back_len1275_dim1_sp_op_CI_CI: ; @bluestein_single_back_len1275_dim1_sp_op_CI_CI
; %bb.0:
	s_load_dwordx4 s[0:3], s[4:5], 0x28
	v_mul_u32_u24_e32 v1, 0x304, v0
	v_lshrrev_b32_e32 v1, 16, v1
	v_mad_u64_u32 v[100:101], null, s6, 3, v[1:2]
	v_mov_b32_e32 v101, 0
                                        ; kill: def $vgpr2 killed $sgpr0 killed $exec
	s_waitcnt lgkmcnt(0)
	v_cmp_gt_u64_e32 vcc_lo, s[0:1], v[100:101]
	s_and_saveexec_b32 s0, vcc_lo
	s_cbranch_execz .LBB0_15
; %bb.1:
	v_mul_hi_u32 v2, 0xaaaaaaab, v100
	s_clause 0x1
	s_load_dwordx2 s[12:13], s[4:5], 0x0
	s_load_dwordx2 s[14:15], s[4:5], 0x38
	v_mul_lo_u16 v1, 0x55, v1
	v_sub_nc_u16 v0, v0, v1
	v_lshrrev_b32_e32 v2, 1, v2
	v_and_b32_e32 v104, 0xffff, v0
	v_lshl_add_u32 v2, v2, 1, v2
	v_cmp_gt_u16_e32 vcc_lo, 0x4b, v0
	v_lshlrev_b32_e32 v103, 3, v104
	v_sub_nc_u32_e32 v1, v100, v2
	v_mul_u32_u24_e32 v48, 0x4fb, v1
	v_lshlrev_b32_e32 v105, 3, v48
	s_and_saveexec_b32 s1, vcc_lo
	s_cbranch_execz .LBB0_3
; %bb.2:
	s_load_dwordx2 s[6:7], s[4:5], 0x18
	s_waitcnt lgkmcnt(0)
	v_add_co_u32 v21, s0, s12, v103
	v_add_co_ci_u32_e64 v22, null, s13, 0, s0
	v_add_nc_u32_e32 v71, v105, v103
	v_add_co_u32 v12, s0, 0x800, v21
	v_add_co_ci_u32_e64 v13, s0, 0, v22, s0
	v_add_co_u32 v14, s0, 0x1000, v21
	v_add_co_ci_u32_e64 v15, s0, 0, v22, s0
	v_lshl_add_u32 v72, v104, 3, v105
	v_add_nc_u32_e32 v73, 0x400, v71
	v_add_nc_u32_e32 v74, 0x800, v71
	;; [unrolled: 1-line block ×5, first 2 shown]
	s_load_dwordx4 s[8:11], s[6:7], 0x0
	s_clause 0x3
	global_load_dwordx2 v[2:3], v103, s[12:13]
	global_load_dwordx2 v[4:5], v103, s[12:13] offset:600
	global_load_dwordx2 v[6:7], v103, s[12:13] offset:1200
	;; [unrolled: 1-line block ×3, first 2 shown]
	s_waitcnt lgkmcnt(0)
	v_mad_u64_u32 v[0:1], null, s10, v100, 0
	v_mad_u64_u32 v[10:11], null, s8, v104, 0
	s_mul_i32 s6, s9, 0x258
	s_mul_hi_u32 s7, s8, 0x258
	s_add_i32 s7, s7, s6
	v_mad_u64_u32 v[19:20], null, s9, v104, v[11:12]
	v_mov_b32_e32 v11, v19
	v_lshlrev_b64 v[10:11], 3, v[10:11]
	s_waitcnt vmcnt(3)
	v_mad_u64_u32 v[16:17], null, s11, v100, v[1:2]
	v_add_co_u32 v17, s0, 0x1800, v21
	v_add_co_ci_u32_e64 v18, s0, 0, v22, s0
	v_add_co_u32 v20, s0, 0x2000, v21
	v_mov_b32_e32 v1, v16
	v_add_co_ci_u32_e64 v21, s0, 0, v22, s0
	s_clause 0x6
	global_load_dwordx2 v[22:23], v[12:13], off offset:352
	global_load_dwordx2 v[24:25], v[12:13], off offset:952
	global_load_dwordx2 v[12:13], v[12:13], off offset:1552
	global_load_dwordx2 v[26:27], v[14:15], off offset:104
	global_load_dwordx2 v[28:29], v[14:15], off offset:704
	global_load_dwordx2 v[30:31], v[14:15], off offset:1304
	global_load_dwordx2 v[14:15], v[14:15], off offset:1904
	v_lshlrev_b64 v[0:1], 3, v[0:1]
	s_clause 0x3
	global_load_dwordx2 v[32:33], v[17:18], off offset:456
	global_load_dwordx2 v[34:35], v[17:18], off offset:1056
	global_load_dwordx2 v[16:17], v[17:18], off offset:1656
	global_load_dwordx2 v[36:37], v[20:21], off offset:208
	v_add_co_u32 v0, s0, s2, v0
	v_add_co_ci_u32_e64 v1, s0, s3, v1, s0
	s_mul_i32 s2, s8, 0x258
	v_add_co_u32 v0, s0, v0, v10
	v_add_co_ci_u32_e64 v1, s0, v1, v11, s0
	v_add_co_u32 v10, s0, v0, s2
	v_add_co_ci_u32_e64 v11, s0, s7, v1, s0
	global_load_dwordx2 v[0:1], v[0:1], off
	v_add_co_u32 v18, s0, v10, s2
	v_add_co_ci_u32_e64 v19, s0, s7, v11, s0
	v_add_co_u32 v38, s0, v18, s2
	v_add_co_ci_u32_e64 v39, s0, s7, v19, s0
	;; [unrolled: 2-line block ×3, first 2 shown]
	s_clause 0x2
	global_load_dwordx2 v[10:11], v[10:11], off
	global_load_dwordx2 v[18:19], v[18:19], off
	;; [unrolled: 1-line block ×3, first 2 shown]
	v_add_co_u32 v42, s0, v40, s2
	v_add_co_ci_u32_e64 v43, s0, s7, v41, s0
	global_load_dwordx2 v[40:41], v[40:41], off
	v_add_co_u32 v44, s0, v42, s2
	v_add_co_ci_u32_e64 v45, s0, s7, v43, s0
	global_load_dwordx2 v[42:43], v[42:43], off
	;; [unrolled: 3-line block ×12, first 2 shown]
	s_clause 0x1
	global_load_dwordx2 v[67:68], v[20:21], off offset:808
	global_load_dwordx2 v[20:21], v[20:21], off offset:1408
	global_load_dwordx2 v[65:66], v[65:66], off
	s_waitcnt vmcnt(18)
	v_mul_f32_e32 v69, v1, v3
	v_mul_f32_e32 v3, v0, v3
	v_fmac_f32_e32 v69, v0, v2
	v_fma_f32 v70, v1, v2, -v3
	ds_write_b64 v72, v[69:70]
	s_waitcnt vmcnt(17)
	v_mul_f32_e32 v0, v11, v5
	v_mul_f32_e32 v1, v10, v5
	s_waitcnt vmcnt(16)
	v_mul_f32_e32 v2, v19, v7
	v_mul_f32_e32 v3, v18, v7
	s_waitcnt vmcnt(15)
	v_mul_f32_e32 v5, v38, v9
	v_fmac_f32_e32 v0, v10, v4
	v_fma_f32 v1, v11, v4, -v1
	v_mul_f32_e32 v4, v39, v9
	v_fmac_f32_e32 v2, v18, v6
	s_waitcnt vmcnt(14)
	v_mul_f32_e32 v7, v41, v23
	v_fma_f32 v3, v19, v6, -v3
	v_mul_f32_e32 v6, v40, v23
	s_waitcnt vmcnt(13)
	v_mul_f32_e32 v9, v43, v25
	v_mul_f32_e32 v10, v42, v25
	v_fmac_f32_e32 v4, v38, v8
	v_fma_f32 v5, v39, v8, -v5
	v_fmac_f32_e32 v7, v40, v22
	s_waitcnt vmcnt(12)
	v_mul_f32_e32 v11, v45, v13
	v_mul_f32_e32 v13, v44, v13
	v_fma_f32 v8, v41, v22, -v6
	v_fmac_f32_e32 v9, v42, v24
	v_fma_f32 v10, v43, v24, -v10
	v_fmac_f32_e32 v11, v44, v12
	v_fma_f32 v12, v45, v12, -v13
	ds_write2_b64 v71, v[0:1], v[2:3] offset0:75 offset1:150
	ds_write2_b64 v73, v[4:5], v[7:8] offset0:97 offset1:172
	s_waitcnt vmcnt(11)
	v_mul_f32_e32 v0, v47, v27
	v_mul_f32_e32 v1, v46, v27
	s_waitcnt vmcnt(10)
	v_mul_f32_e32 v2, v50, v29
	ds_write2_b64 v74, v[9:10], v[11:12] offset0:119 offset1:194
	v_mul_f32_e32 v3, v49, v29
	v_fmac_f32_e32 v0, v46, v26
	v_fma_f32 v1, v47, v26, -v1
	s_waitcnt vmcnt(9)
	v_mul_f32_e32 v4, v52, v31
	v_mul_f32_e32 v5, v51, v31
	v_fmac_f32_e32 v2, v49, v28
	v_fma_f32 v3, v50, v28, -v3
	s_waitcnt vmcnt(8)
	v_mul_f32_e32 v6, v54, v15
	;; [unrolled: 5-line block ×7, first 2 shown]
	v_mul_f32_e32 v17, v63, v68
	s_waitcnt vmcnt(0)
	v_mul_f32_e32 v18, v66, v21
	v_mul_f32_e32 v19, v65, v21
	v_fmac_f32_e32 v14, v61, v36
	v_fma_f32 v15, v62, v36, -v15
	v_fmac_f32_e32 v16, v63, v67
	v_fma_f32 v17, v64, v67, -v17
	v_fmac_f32_e32 v18, v65, v20
	v_fma_f32 v19, v66, v20, -v19
	v_add_nc_u32_e32 v20, 0x2000, v71
	ds_write2_b64 v75, v[0:1], v[2:3] offset0:13 offset1:88
	ds_write2_b64 v75, v[4:5], v[6:7] offset0:163 offset1:238
	;; [unrolled: 1-line block ×5, first 2 shown]
.LBB0_3:
	s_or_b32 exec_lo, exec_lo, s1
	s_clause 0x1
	s_load_dwordx2 s[0:1], s[4:5], 0x20
	s_load_dwordx2 s[2:3], s[4:5], 0x8
	v_mov_b32_e32 v4, 0
	v_mov_b32_e32 v5, 0
	s_waitcnt lgkmcnt(0)
	s_barrier
	buffer_gl0_inv
                                        ; implicit-def: $vgpr22
                                        ; implicit-def: $vgpr16
                                        ; implicit-def: $vgpr12
                                        ; implicit-def: $vgpr8
                                        ; implicit-def: $vgpr36
                                        ; implicit-def: $vgpr30
                                        ; implicit-def: $vgpr34
                                        ; implicit-def: $vgpr26
	s_and_saveexec_b32 s4, vcc_lo
	s_cbranch_execz .LBB0_5
; %bb.4:
	v_lshl_add_u32 v0, v48, 3, v103
	ds_read2_b64 v[4:7], v0 offset1:75
	ds_read2_b64 v[24:27], v0 offset0:150 offset1:225
	v_add_nc_u32_e32 v1, 0x800, v0
	v_add_nc_u32_e32 v2, 0xc00, v0
	;; [unrolled: 1-line block ×6, first 2 shown]
	ds_read2_b64 v[32:35], v1 offset0:44 offset1:119
	ds_read2_b64 v[28:31], v2 offset0:66 offset1:141
	;; [unrolled: 1-line block ×6, first 2 shown]
	ds_read_b64 v[36:37], v0 offset:9600
.LBB0_5:
	s_or_b32 exec_lo, exec_lo, s4
	s_waitcnt lgkmcnt(0)
	v_sub_f32_e32 v78, v7, v37
	v_sub_f32_e32 v90, v6, v36
	v_add_f32_e32 v38, v36, v6
	v_add_f32_e32 v40, v37, v7
	v_sub_f32_e32 v86, v24, v10
	v_mul_f32_e32 v55, 0xbeb8f4ab, v78
	v_mul_f32_e32 v57, 0xbeb8f4ab, v90
	v_sub_f32_e32 v83, v25, v11
	v_add_f32_e32 v39, v10, v24
	v_mul_f32_e32 v68, 0xbf2c7751, v78
	v_fmamk_f32 v0, v38, 0x3f6eb680, v55
	v_fma_f32 v1, 0x3f6eb680, v40, -v57
	v_mul_f32_e32 v69, 0xbf2c7751, v90
	v_mul_f32_e32 v56, 0xbf2c7751, v83
	v_add_f32_e32 v41, v11, v25
	v_mul_f32_e32 v59, 0xbf2c7751, v86
	v_add_f32_e32 v0, v0, v4
	v_add_f32_e32 v1, v1, v5
	v_fmamk_f32 v2, v38, 0x3f3d2fb0, v68
	v_fma_f32 v3, 0x3f3d2fb0, v40, -v69
	v_fmamk_f32 v42, v39, 0x3f3d2fb0, v56
	v_sub_f32_e32 v93, v27, v9
	v_fma_f32 v43, 0x3f3d2fb0, v41, -v59
	v_mul_f32_e32 v72, 0xbf7ee86f, v83
	v_mul_f32_e32 v74, 0xbf7ee86f, v86
	v_sub_f32_e32 v106, v26, v8
	v_add_f32_e32 v2, v2, v4
	v_add_f32_e32 v3, v3, v5
	;; [unrolled: 1-line block ×4, first 2 shown]
	v_mul_f32_e32 v58, 0xbf65296c, v93
	v_add_f32_e32 v1, v43, v1
	v_fmamk_f32 v44, v39, 0x3dbcf732, v72
	v_fma_f32 v45, 0x3dbcf732, v41, -v74
	v_add_f32_e32 v43, v9, v27
	v_mul_f32_e32 v60, 0xbf65296c, v106
	v_sub_f32_e32 v107, v33, v15
	v_fmamk_f32 v46, v42, 0x3ee437d1, v58
	v_add_f32_e32 v2, v44, v2
	v_add_f32_e32 v3, v45, v3
	v_fma_f32 v45, 0x3ee437d1, v43, -v60
	v_mul_f32_e32 v75, 0xbf4c4adb, v93
	v_mul_f32_e32 v76, 0xbf4c4adb, v106
	v_add_f32_e32 v44, v14, v32
	v_mul_f32_e32 v61, 0xbf7ee86f, v107
	v_sub_f32_e32 v110, v32, v14
	v_add_f32_e32 v0, v46, v0
	v_add_f32_e32 v1, v45, v1
	v_fmamk_f32 v46, v42, 0xbf1a4643, v75
	v_fma_f32 v47, 0xbf1a4643, v43, -v76
	v_fmamk_f32 v49, v44, 0x3dbcf732, v61
	v_add_f32_e32 v45, v15, v33
	v_mul_f32_e32 v63, 0xbf7ee86f, v110
	v_sub_f32_e32 v111, v35, v13
	v_mul_f32_e32 v79, 0xbe3c28d5, v107
	v_mul_f32_e32 v81, 0xbe3c28d5, v110
	v_sub_f32_e32 v112, v34, v12
	v_add_f32_e32 v2, v46, v2
	v_add_f32_e32 v3, v47, v3
	;; [unrolled: 1-line block ×3, first 2 shown]
	v_fma_f32 v49, 0x3dbcf732, v45, -v63
	v_add_f32_e32 v46, v12, v34
	v_mul_f32_e32 v62, 0xbf763a35, v111
	v_fmamk_f32 v50, v44, 0xbf7ba420, v79
	v_fma_f32 v51, 0xbf7ba420, v45, -v81
	v_add_f32_e32 v47, v13, v35
	v_mul_f32_e32 v66, 0xbf763a35, v112
	v_sub_f32_e32 v114, v28, v18
	v_fmamk_f32 v52, v46, 0xbe8c1d8e, v62
	v_add_f32_e32 v1, v49, v1
	v_add_f32_e32 v2, v50, v2
	;; [unrolled: 1-line block ×3, first 2 shown]
	v_fma_f32 v51, 0xbe8c1d8e, v47, -v66
	v_sub_f32_e32 v113, v29, v19
	v_mul_f32_e32 v89, 0x3f06c442, v111
	v_mul_f32_e32 v91, 0x3f06c442, v112
	v_add_f32_e32 v50, v19, v29
	v_mul_f32_e32 v71, 0xbf4c4adb, v114
	v_add_f32_e32 v0, v52, v0
	v_add_f32_e32 v49, v18, v28
	v_mul_f32_e32 v67, 0xbf4c4adb, v113
	v_fmamk_f32 v52, v46, 0xbf59a7d5, v89
	v_fma_f32 v53, 0xbf59a7d5, v47, -v91
	v_add_f32_e32 v1, v51, v1
	v_fma_f32 v51, 0xbf1a4643, v50, -v71
	v_mul_f32_e32 v92, 0x3f763a35, v113
	v_sub_f32_e32 v115, v31, v17
	v_sub_f32_e32 v116, v30, v16
	v_fmamk_f32 v54, v49, 0xbf1a4643, v67
	v_add_f32_e32 v2, v52, v2
	v_add_f32_e32 v3, v53, v3
	;; [unrolled: 1-line block ×3, first 2 shown]
	v_mul_f32_e32 v101, 0x3f763a35, v114
	v_fmamk_f32 v53, v49, 0xbe8c1d8e, v92
	v_add_f32_e32 v51, v16, v30
	v_mul_f32_e32 v64, 0xbf06c442, v115
	v_add_f32_e32 v52, v17, v31
	v_mul_f32_e32 v73, 0xbf06c442, v116
	v_mul_f32_e32 v94, 0x3f65296c, v115
	v_add_f32_e32 v0, v54, v0
	v_fma_f32 v54, 0xbe8c1d8e, v50, -v101
	v_fmamk_f32 v65, v51, 0xbf59a7d5, v64
	v_add_f32_e32 v2, v53, v2
	v_fma_f32 v53, 0xbf59a7d5, v52, -v73
	v_fmamk_f32 v70, v51, 0x3ee437d1, v94
	v_mul_f32_e32 v108, 0x3f65296c, v116
	v_sub_f32_e32 v117, v21, v23
	v_sub_f32_e32 v118, v20, v22
	v_add_f32_e32 v3, v54, v3
	v_add_f32_e32 v0, v65, v0
	;; [unrolled: 1-line block ×4, first 2 shown]
	v_fma_f32 v2, 0x3ee437d1, v52, -v108
	v_add_f32_e32 v53, v22, v20
	v_add_f32_e32 v54, v23, v21
	v_mul_f32_e32 v65, 0xbe3c28d5, v117
	v_mul_f32_e32 v70, 0xbe3c28d5, v118
	;; [unrolled: 1-line block ×4, first 2 shown]
	v_add_f32_e32 v80, v2, v3
	v_fmamk_f32 v2, v53, 0xbf7ba420, v65
	v_fma_f32 v3, 0xbf7ba420, v54, -v70
	v_fmamk_f32 v82, v53, 0x3f6eb680, v85
	v_fma_f32 v84, 0x3f6eb680, v54, -v109
	v_add_f32_e32 v2, v2, v0
	v_add_f32_e32 v3, v3, v1
	;; [unrolled: 1-line block ×4, first 2 shown]
	s_barrier
	buffer_gl0_inv
	s_and_saveexec_b32 s4, vcc_lo
	s_cbranch_execz .LBB0_7
; %bb.6:
	v_mul_f32_e32 v96, 0xbe3c28d5, v90
	v_mul_f32_e32 v88, 0x3eb8f4ab, v86
	v_mul_f32_e32 v87, 0xbf06c442, v106
	v_mul_f32_e32 v102, 0xbe3c28d5, v78
	v_mul_f32_e32 v84, 0x3f2c7751, v110
	v_fmamk_f32 v95, v40, 0xbf7ba420, v96
	v_fmamk_f32 v98, v41, 0x3f6eb680, v88
	v_mul_f32_e32 v99, 0x3eb8f4ab, v83
	v_fmamk_f32 v120, v43, 0xbf59a7d5, v87
	v_fma_f32 v121, 0xbf7ba420, v38, -v102
	v_add_f32_e32 v119, v95, v5
	v_mul_f32_e32 v82, 0xbf4c4adb, v112
	v_mul_f32_e32 v97, 0xbf06c442, v93
	v_fmamk_f32 v122, v45, 0x3f3d2fb0, v84
	v_fma_f32 v123, 0x3f6eb680, v39, -v99
	v_add_f32_e32 v119, v98, v119
	v_mul_f32_e32 v95, 0x3f2c7751, v107
	v_add_f32_e32 v7, v7, v5
	v_fma_f32 v124, 0xbf59a7d5, v42, -v97
	v_add_f32_e32 v6, v6, v4
	v_add_f32_e32 v119, v120, v119
	;; [unrolled: 1-line block ×3, first 2 shown]
	v_fmamk_f32 v121, v47, 0xbf1a4643, v82
	v_add_f32_e32 v7, v25, v7
	v_add_f32_e32 v6, v24, v6
	v_add_f32_e32 v119, v122, v119
	v_add_f32_e32 v120, v123, v120
	v_fma_f32 v123, 0x3f3d2fb0, v44, -v95
	v_mul_f32_e32 v98, 0xbf4c4adb, v111
	v_add_f32_e32 v7, v27, v7
	v_add_f32_e32 v121, v121, v119
	;; [unrolled: 1-line block ×3, first 2 shown]
	v_mul_f32_e32 v119, 0xbf06c442, v90
	v_add_f32_e32 v6, v26, v6
	v_fma_f32 v25, 0xbf1a4643, v46, -v98
	v_add_f32_e32 v7, v33, v7
	v_add_f32_e32 v24, v123, v120
	v_fmamk_f32 v26, v40, 0xbf59a7d5, v119
	v_mul_f32_e32 v120, 0x3f65296c, v86
	v_add_f32_e32 v6, v32, v6
	v_mul_f32_e32 v27, 0xbf7ee86f, v106
	v_mul_f32_e32 v80, 0x3f65296c, v114
	v_add_f32_e32 v26, v26, v5
	v_fmamk_f32 v32, v41, 0x3ee437d1, v120
	v_add_f32_e32 v7, v35, v7
	v_add_f32_e32 v6, v34, v6
	;; [unrolled: 1-line block ×3, first 2 shown]
	v_mul_f32_e32 v25, 0x3f4c4adb, v110
	v_add_f32_e32 v24, v32, v26
	v_fmamk_f32 v26, v43, 0x3dbcf732, v27
	v_mul_f32_e32 v77, 0xbf763a35, v116
	v_fmamk_f32 v122, v50, 0x3ee437d1, v80
	v_mul_f32_e32 v123, 0x3f65296c, v113
	v_add_f32_e32 v7, v29, v7
	v_add_f32_e32 v6, v28, v6
	;; [unrolled: 1-line block ×3, first 2 shown]
	v_fmamk_f32 v28, v45, 0xbf1a4643, v25
	v_mul_f32_e32 v24, 0xbeb8f4ab, v112
	v_add_f32_e32 v122, v122, v121
	v_fmamk_f32 v33, v52, 0xbe8c1d8e, v77
	v_fma_f32 v124, 0x3ee437d1, v49, -v123
	v_mul_f32_e32 v35, 0xbf763a35, v115
	v_add_f32_e32 v7, v31, v7
	v_add_f32_e32 v6, v30, v6
	;; [unrolled: 1-line block ×3, first 2 shown]
	v_fmamk_f32 v28, v47, 0x3f6eb680, v24
	v_mul_f32_e32 v125, 0xbf06c442, v78
	v_add_f32_e32 v29, v124, v34
	v_fma_f32 v30, 0xbe8c1d8e, v51, -v35
	v_add_f32_e32 v32, v33, v122
	v_add_f32_e32 v122, v28, v26
	v_fma_f32 v26, 0xbf59a7d5, v38, -v125
	v_add_f32_e32 v7, v21, v7
	v_add_f32_e32 v6, v20, v6
	v_mul_f32_e32 v126, 0x3f65296c, v83
	v_add_f32_e32 v34, v30, v29
	v_add_f32_e32 v20, v26, v4
	;; [unrolled: 1-line block ×4, first 2 shown]
	v_fma_f32 v21, 0x3ee437d1, v39, -v126
	v_mul_f32_e32 v29, 0xbf7ee86f, v93
	v_mul_f32_e32 v26, 0xbe3c28d5, v114
	v_add_f32_e32 v7, v17, v7
	v_add_f32_e32 v6, v16, v6
	;; [unrolled: 1-line block ×3, first 2 shown]
	v_fma_f32 v17, 0x3dbcf732, v42, -v29
	v_mul_f32_e32 v30, 0x3f4c4adb, v107
	v_mul_f32_e32 v124, 0x3f7ee86f, v117
	v_add_f32_e32 v19, v19, v7
	v_add_f32_e32 v18, v18, v6
	v_fmamk_f32 v6, v50, 0xbf7ba420, v26
	v_mul_f32_e32 v28, 0x3f2c7751, v116
	v_add_f32_e32 v7, v17, v16
	v_fma_f32 v16, 0xbf1a4643, v44, -v30
	v_mul_f32_e32 v31, 0xbeb8f4ab, v111
	v_fma_f32 v17, 0x3dbcf732, v53, -v124
	v_add_f32_e32 v20, v6, v122
	v_fmamk_f32 v21, v52, 0x3f3d2fb0, v28
	v_add_f32_e32 v16, v16, v7
	v_fma_f32 v23, 0x3f6eb680, v46, -v31
	v_mul_f32_e32 v22, 0xbe3c28d5, v113
	v_add_f32_e32 v13, v13, v19
	v_add_f32_e32 v6, v17, v34
	;; [unrolled: 1-line block ×5, first 2 shown]
	v_fma_f32 v18, 0xbf7ba420, v49, -v22
	v_mul_f32_e32 v21, 0x3f2c7751, v115
	v_add_f32_e32 v13, v15, v13
	v_mul_f32_e32 v129, 0xbf4c4adb, v90
	v_add_f32_e32 v12, v14, v12
	;; [unrolled: 2-line block ×3, first 2 shown]
	v_fma_f32 v15, 0x3f3d2fb0, v51, -v21
	v_add_f32_e32 v9, v9, v13
	v_mul_f32_e32 v130, 0xbf4c4adb, v78
	v_fmamk_f32 v16, v40, 0xbf1a4643, v129
	v_add_f32_e32 v8, v8, v12
	v_mul_f32_e32 v134, 0x3f763a35, v86
	v_mul_f32_e32 v20, 0xbf763a35, v117
	v_add_f32_e32 v11, v11, v9
	v_fmamk_f32 v9, v54, 0xbe8c1d8e, v122
	v_add_f32_e32 v13, v15, v14
	v_fma_f32 v14, 0xbf1a4643, v38, -v130
	v_mul_f32_e32 v132, 0x3f763a35, v83
	v_mul_f32_e32 v146, 0xbf763a35, v78
	;; [unrolled: 1-line block ×3, first 2 shown]
	v_add_f32_e32 v12, v16, v5
	v_add_f32_e32 v10, v10, v8
	v_fmamk_f32 v8, v41, 0xbe8c1d8e, v134
	v_mul_f32_e32 v150, 0xbeb8f4ab, v106
	v_fma_f32 v15, 0xbe8c1d8e, v53, -v20
	v_add_f32_e32 v14, v14, v4
	v_fma_f32 v18, 0xbe8c1d8e, v39, -v132
	v_mul_f32_e32 v127, 0xbeb8f4ab, v93
	v_add_f32_e32 v9, v9, v17
	v_fma_f32 v17, 0xbe8c1d8e, v38, -v146
	v_mul_f32_e32 v147, 0x3f06c442, v83
	v_fmamk_f32 v33, v54, 0x3dbcf732, v121
	v_add_f32_e32 v12, v8, v12
	v_fmamk_f32 v16, v43, 0x3f6eb680, v150
	v_mul_f32_e32 v155, 0xbf06c442, v110
	v_add_f32_e32 v8, v15, v13
	v_add_f32_e32 v13, v18, v14
	v_fma_f32 v14, 0x3f6eb680, v42, -v127
	v_mul_f32_e32 v128, 0xbf06c442, v107
	v_add_f32_e32 v17, v17, v4
	v_fma_f32 v19, 0xbf59a7d5, v39, -v147
	v_mul_f32_e32 v148, 0x3f2c7751, v93
	v_add_f32_e32 v7, v33, v32
	v_add_f32_e32 v12, v16, v12
	v_fmamk_f32 v15, v45, 0xbf59a7d5, v155
	v_mul_f32_e32 v151, 0x3f7ee86f, v112
	v_add_f32_e32 v13, v14, v13
	v_fma_f32 v14, 0xbf59a7d5, v44, -v128
	v_mul_f32_e32 v33, 0x3f7ee86f, v111
	v_add_f32_e32 v17, v19, v17
	v_fma_f32 v19, 0x3f3d2fb0, v42, -v148
	v_mul_f32_e32 v139, 0xbf65296c, v107
	v_add_f32_e32 v12, v15, v12
	v_fmamk_f32 v15, v47, 0x3dbcf732, v151
	v_mul_f32_e32 v152, 0xbf2c7751, v114
	v_add_f32_e32 v13, v14, v13
	v_fma_f32 v14, 0x3dbcf732, v46, -v33
	v_mul_f32_e32 v34, 0xbf2c7751, v113
	v_add_f32_e32 v17, v19, v17
	v_fma_f32 v19, 0x3ee437d1, v44, -v139
	v_mul_f32_e32 v140, 0xbe3c28d5, v111
	;; [unrolled: 9-line block ×3, first 2 shown]
	v_add_f32_e32 v12, v15, v12
	v_fmamk_f32 v15, v52, 0xbf7ba420, v153
	v_add_f32_e32 v13, v14, v13
	v_fma_f32 v14, 0xbf7ba420, v51, -v32
	v_mul_f32_e32 v143, 0x3f65296c, v118
	v_mul_f32_e32 v154, 0xbf763a35, v90
	;; [unrolled: 1-line block ×3, first 2 shown]
	v_add_f32_e32 v17, v19, v17
	v_fma_f32 v19, 0x3dbcf732, v49, -v141
	v_mul_f32_e32 v133, 0xbeb8f4ab, v115
	v_add_f32_e32 v12, v15, v12
	v_add_f32_e32 v14, v14, v13
	v_fmamk_f32 v13, v54, 0x3ee437d1, v143
	v_fmamk_f32 v15, v40, 0xbe8c1d8e, v154
	v_mul_f32_e32 v163, 0x3f06c442, v86
	v_fma_f32 v16, 0x3ee437d1, v53, -v23
	v_add_f32_e32 v17, v19, v17
	v_fma_f32 v19, 0x3f6eb680, v51, -v133
	v_mul_f32_e32 v160, 0xbf7ee86f, v78
	v_add_f32_e32 v15, v15, v5
	v_fmamk_f32 v18, v41, 0xbf59a7d5, v163
	v_mul_f32_e32 v156, 0x3f2c7751, v106
	v_add_f32_e32 v13, v13, v12
	v_add_f32_e32 v12, v16, v14
	;; [unrolled: 1-line block ×3, first 2 shown]
	v_fma_f32 v19, 0x3dbcf732, v38, -v160
	v_mul_f32_e32 v161, 0xbe3c28d5, v83
	v_add_f32_e32 v11, v37, v11
	v_add_f32_e32 v15, v18, v15
	v_fmamk_f32 v18, v43, 0x3f3d2fb0, v156
	v_mul_f32_e32 v157, 0xbf65296c, v110
	v_add_f32_e32 v19, v19, v4
	v_fma_f32 v37, 0xbf7ba420, v39, -v161
	v_mul_f32_e32 v145, 0x3f763a35, v93
	v_add_f32_e32 v15, v18, v15
	v_fmamk_f32 v18, v45, 0x3ee437d1, v157
	v_mul_f32_e32 v158, 0xbe3c28d5, v112
	v_add_f32_e32 v19, v37, v19
	v_fma_f32 v37, 0xbe8c1d8e, v42, -v145
	v_mul_f32_e32 v137, 0x3eb8f4ab, v107
	v_add_f32_e32 v15, v18, v15
	v_fmamk_f32 v18, v47, 0xbf7ba420, v158
	v_mul_f32_e32 v159, 0x3f7ee86f, v114
	v_add_f32_e32 v19, v37, v19
	v_fma_f32 v37, 0x3f6eb680, v44, -v137
	v_mul_f32_e32 v135, 0xbf65296c, v111
	v_add_f32_e32 v15, v18, v15
	v_fmamk_f32 v18, v50, 0x3dbcf732, v159
	v_mul_f32_e32 v149, 0xbeb8f4ab, v116
	v_add_f32_e32 v19, v37, v19
	v_fma_f32 v37, 0x3ee437d1, v46, -v135
	v_mul_f32_e32 v131, 0xbf06c442, v113
	v_add_f32_e32 v15, v18, v15
	v_fmamk_f32 v18, v52, 0x3f6eb680, v149
	v_mul_f32_e32 v142, 0xbf4c4adb, v118
	v_mul_f32_e32 v162, 0xbf7ee86f, v90
	;; [unrolled: 1-line block ×3, first 2 shown]
	v_add_f32_e32 v19, v37, v19
	v_fma_f32 v138, 0xbf59a7d5, v49, -v131
	v_mul_f32_e32 v37, 0x3f4c4adb, v115
	v_add_f32_e32 v14, v18, v15
	v_fmamk_f32 v15, v54, 0xbf1a4643, v142
	v_fmamk_f32 v17, v40, 0x3dbcf732, v162
	v_mul_f32_e32 v170, 0xbe3c28d5, v86
	v_fma_f32 v18, 0xbf1a4643, v53, -v136
	v_add_f32_e32 v19, v138, v19
	v_fma_f32 v167, 0xbf1a4643, v51, -v37
	v_add_f32_e32 v10, v36, v10
	v_add_f32_e32 v17, v17, v5
	v_fmamk_f32 v36, v41, 0xbf7ba420, v170
	v_mul_f32_e32 v171, 0x3f763a35, v106
	v_add_f32_e32 v15, v15, v14
	v_add_f32_e32 v14, v18, v16
	v_mul_f32_e32 v169, 0xbf65296c, v90
	v_add_f32_e32 v18, v167, v19
	v_mul_f32_e32 v167, 0xbf65296c, v78
	v_add_f32_e32 v17, v36, v17
	v_fmamk_f32 v36, v43, 0xbe8c1d8e, v171
	v_mul_f32_e32 v164, 0x3eb8f4ab, v110
	v_fmamk_f32 v19, v40, 0x3ee437d1, v169
	v_mul_f32_e32 v172, 0xbf4c4adb, v86
	v_fma_f32 v78, 0x3ee437d1, v38, -v167
	v_mul_f32_e32 v168, 0xbf4c4adb, v83
	v_add_f32_e32 v17, v36, v17
	v_fmamk_f32 v36, v45, 0x3f6eb680, v164
	v_mul_f32_e32 v165, 0xbf65296c, v112
	v_add_f32_e32 v19, v19, v5
	v_fmamk_f32 v83, v41, 0xbf1a4643, v172
	v_mul_f32_e32 v173, 0x3e3c28d5, v106
	v_add_f32_e32 v78, v78, v4
	v_fma_f32 v86, 0xbf1a4643, v39, -v168
	v_mul_f32_e32 v93, 0x3e3c28d5, v93
	v_add_f32_e32 v17, v36, v17
	v_fmamk_f32 v36, v47, 0x3ee437d1, v165
	v_mul_f32_e32 v166, 0xbf06c442, v114
	v_add_f32_e32 v19, v83, v19
	v_fmamk_f32 v83, v43, 0xbf7ba420, v173
	v_mul_f32_e32 v110, 0x3f763a35, v110
	v_add_f32_e32 v78, v86, v78
	;; [unrolled: 9-line block ×3, first 2 shown]
	v_fma_f32 v86, 0xbe8c1d8e, v44, -v106
	v_mul_f32_e32 v107, 0x3f2c7751, v111
	v_add_f32_e32 v17, v36, v17
	v_fmamk_f32 v36, v52, 0xbf1a4643, v144
	v_add_f32_e32 v19, v83, v19
	v_fmamk_f32 v83, v47, 0x3f3d2fb0, v112
	v_mul_f32_e32 v111, 0xbeb8f4ab, v114
	v_add_f32_e32 v90, v86, v78
	v_fma_f32 v114, 0x3f3d2fb0, v46, -v107
	v_mul_f32_e32 v78, 0xbeb8f4ab, v113
	v_add_f32_e32 v16, v36, v17
	v_mul_f32_e32 v138, 0x3f2c7751, v118
	v_mul_f32_e32 v36, 0x3f2c7751, v117
	v_add_f32_e32 v19, v83, v19
	v_fmamk_f32 v113, v50, 0x3f6eb680, v111
	v_mul_f32_e32 v86, 0xbf7ee86f, v116
	v_add_f32_e32 v114, v114, v90
	v_fma_f32 v116, 0x3f6eb680, v49, -v78
	v_mul_f32_e32 v83, 0xbf7ee86f, v115
	v_fmamk_f32 v17, v54, 0x3f3d2fb0, v138
	v_fma_f32 v174, 0x3f3d2fb0, v53, -v36
	v_add_f32_e32 v19, v113, v19
	v_fmamk_f32 v113, v52, 0x3dbcf732, v86
	v_mul_f32_e32 v90, 0xbf06c442, v118
	v_add_f32_e32 v114, v116, v114
	v_fma_f32 v115, 0x3dbcf732, v51, -v83
	v_add_f32_e32 v17, v17, v16
	v_add_f32_e32 v19, v113, v19
	v_fmamk_f32 v116, v54, 0xbf59a7d5, v90
	v_add_f32_e32 v16, v174, v18
	v_add_f32_e32 v18, v115, v114
	v_mul_f32_e32 v114, 0x3f3d2fb0, v40
	v_mul_f32_e32 v115, 0x3f3d2fb0, v38
	v_add_f32_e32 v19, v116, v19
	v_mul_f32_e32 v116, 0x3dbcf732, v41
	v_mul_f32_e32 v113, 0xbf06c442, v117
	v_add_f32_e32 v69, v69, v114
	v_mul_f32_e32 v117, 0x3dbcf732, v39
	v_sub_f32_e32 v68, v115, v68
	v_add_f32_e32 v74, v74, v116
	v_mul_f32_e32 v115, 0xbf1a4643, v43
	v_add_f32_e32 v69, v69, v5
	v_sub_f32_e32 v72, v117, v72
	v_add_f32_e32 v68, v68, v4
	v_mul_f32_e32 v116, 0xbf1a4643, v42
	v_fmac_f32_e32 v102, 0xbf7ba420, v38
	v_add_f32_e32 v69, v74, v69
	v_add_f32_e32 v74, v76, v115
	v_mul_f32_e32 v76, 0xbf7ba420, v45
	v_add_f32_e32 v68, v72, v68
	v_sub_f32_e32 v72, v116, v75
	v_mul_f32_e32 v75, 0xbf7ba420, v44
	v_add_f32_e32 v69, v74, v69
	v_add_f32_e32 v74, v81, v76
	v_mul_f32_e32 v76, 0xbf59a7d5, v47
	v_add_f32_e32 v68, v72, v68
	v_sub_f32_e32 v72, v75, v79
	v_mul_f32_e32 v75, 0xbf59a7d5, v46
	;; [unrolled: 6-line block ×4, first 2 shown]
	v_add_f32_e32 v69, v74, v69
	v_mul_f32_e32 v74, 0x3ee437d1, v51
	v_add_f32_e32 v75, v108, v76
	v_add_f32_e32 v68, v72, v68
	v_mul_f32_e32 v72, 0x3f6eb680, v40
	v_add_f32_e32 v59, v59, v79
	v_sub_f32_e32 v74, v74, v94
	v_add_f32_e32 v69, v75, v69
	v_mul_f32_e32 v75, 0x3ee437d1, v43
	v_add_f32_e32 v57, v57, v72
	v_mul_f32_e32 v79, 0x3f3d2fb0, v39
	;; [unrolled: 2-line block ×3, first 2 shown]
	v_mul_f32_e32 v76, 0x3f6eb680, v54
	v_add_f32_e32 v57, v57, v5
	v_sub_f32_e32 v56, v79, v56
	v_fmac_f32_e32 v99, 0x3f6eb680, v39
	v_sub_f32_e32 v55, v74, v55
	v_mul_f32_e32 v74, 0x3ee437d1, v42
	v_add_f32_e32 v57, v59, v57
	v_add_f32_e32 v59, v60, v75
	v_mul_f32_e32 v60, 0x3dbcf732, v45
	v_add_f32_e32 v55, v55, v4
	v_add_f32_e32 v72, v109, v76
	;; [unrolled: 3-line block ×3, first 2 shown]
	v_mul_f32_e32 v60, 0xbe8c1d8e, v47
	v_add_f32_e32 v55, v56, v55
	v_sub_f32_e32 v56, v74, v58
	v_mul_f32_e32 v58, 0x3dbcf732, v44
	v_add_f32_e32 v57, v59, v57
	v_add_f32_e32 v59, v66, v60
	v_mul_f32_e32 v60, 0xbf1a4643, v50
	v_add_f32_e32 v55, v56, v55
	v_sub_f32_e32 v56, v58, v61
	v_mul_f32_e32 v61, 0xbe8c1d8e, v46
	v_add_f32_e32 v57, v59, v57
	v_add_f32_e32 v59, v71, v60
	v_mul_f32_e32 v60, 0xbf59a7d5, v52
	v_add_f32_e32 v55, v56, v55
	v_sub_f32_e32 v61, v61, v62
	v_mul_f32_e32 v62, 0xbf1a4643, v49
	v_sub_f32_e32 v58, v76, v85
	v_add_f32_e32 v57, v59, v57
	v_add_f32_e32 v59, v73, v60
	;; [unrolled: 1-line block ×3, first 2 shown]
	v_sub_f32_e32 v61, v62, v67
	v_fma_f32 v62, 0xbf7ba420, v40, -v96
	v_add_f32_e32 v55, v58, v68
	v_add_f32_e32 v57, v59, v57
	v_fmac_f32_e32 v97, 0xbf59a7d5, v42
	v_add_f32_e32 v58, v61, v60
	v_add_f32_e32 v59, v62, v5
	v_fma_f32 v60, 0x3f6eb680, v41, -v88
	v_add_f32_e32 v61, v102, v4
	v_mul_f32_e32 v62, 0xbf59a7d5, v51
	v_mul_f32_e32 v63, 0xbf7ba420, v54
	v_fmac_f32_e32 v95, 0x3f3d2fb0, v44
	v_add_f32_e32 v59, v60, v59
	v_fma_f32 v60, 0xbf59a7d5, v43, -v87
	v_add_f32_e32 v61, v99, v61
	v_sub_f32_e32 v62, v62, v64
	v_add_f32_e32 v63, v70, v63
	v_fmac_f32_e32 v98, 0xbf1a4643, v46
	v_add_f32_e32 v59, v60, v59
	v_fma_f32 v60, 0x3f3d2fb0, v45, -v84
	v_add_f32_e32 v61, v97, v61
	v_add_f32_e32 v62, v62, v58
	v_mul_f32_e32 v58, 0xbf7ba420, v53
	v_fmac_f32_e32 v123, 0x3ee437d1, v49
	v_add_f32_e32 v59, v60, v59
	v_fma_f32 v60, 0xbf1a4643, v47, -v82
	v_add_f32_e32 v61, v95, v61
	v_sub_f32_e32 v64, v58, v65
	v_add_f32_e32 v58, v63, v57
	v_fmac_f32_e32 v35, 0xbe8c1d8e, v51
	v_add_f32_e32 v59, v60, v59
	v_fma_f32 v60, 0x3ee437d1, v50, -v80
	v_add_f32_e32 v61, v98, v61
	v_add_f32_e32 v57, v64, v62
	v_fma_f32 v62, 0xbf59a7d5, v40, -v119
	v_fma_f32 v63, 0x3ee437d1, v41, -v120
	v_add_f32_e32 v59, v60, v59
	v_fma_f32 v60, 0xbe8c1d8e, v52, -v77
	v_add_f32_e32 v61, v123, v61
	v_add_f32_e32 v62, v62, v5
	v_fmac_f32_e32 v125, 0xbf59a7d5, v38
	v_fma_f32 v27, 0x3dbcf732, v43, -v27
	v_add_f32_e32 v59, v60, v59
	v_add_f32_e32 v35, v35, v61
	v_fma_f32 v60, 0x3dbcf732, v54, -v121
	v_add_f32_e32 v61, v63, v62
	v_add_f32_e32 v62, v125, v4
	v_fmac_f32_e32 v126, 0x3ee437d1, v39
	v_fmac_f32_e32 v124, 0x3dbcf732, v53
	v_add_f32_e32 v60, v60, v59
	v_add_f32_e32 v27, v27, v61
	v_fma_f32 v25, 0xbf1a4643, v45, -v25
	v_add_f32_e32 v61, v126, v62
	v_fmac_f32_e32 v29, 0x3dbcf732, v42
	v_add_f32_e32 v59, v124, v35
	v_fma_f32 v35, 0xbf1a4643, v40, -v129
	v_add_f32_e32 v25, v25, v27
	v_fma_f32 v24, 0x3f6eb680, v47, -v24
	v_add_f32_e32 v27, v29, v61
	v_fmac_f32_e32 v30, 0xbf1a4643, v44
	v_add_f32_e32 v29, v35, v5
	v_fma_f32 v35, 0xbe8c1d8e, v41, -v134
	;; [unrolled: 6-line block ×3, first 2 shown]
	v_add_f32_e32 v24, v25, v24
	v_fma_f32 v25, 0x3f3d2fb0, v52, -v28
	v_fma_f32 v28, 0xbf59a7d5, v45, -v155
	v_add_f32_e32 v26, v31, v26
	v_add_f32_e32 v27, v29, v27
	v_fmac_f32_e32 v22, 0xbf7ba420, v49
	v_add_f32_e32 v24, v25, v24
	v_fma_f32 v25, 0xbe8c1d8e, v54, -v122
	v_fmac_f32_e32 v130, 0xbf1a4643, v38
	v_add_f32_e32 v27, v28, v27
	v_fma_f32 v28, 0x3dbcf732, v47, -v151
	v_add_f32_e32 v26, v22, v26
	v_fmac_f32_e32 v21, 0x3f3d2fb0, v51
	v_add_f32_e32 v29, v130, v4
	v_fmac_f32_e32 v132, 0xbe8c1d8e, v39
	v_add_f32_e32 v22, v25, v24
	v_add_f32_e32 v24, v28, v27
	v_fma_f32 v25, 0x3f3d2fb0, v50, -v152
	v_add_f32_e32 v21, v21, v26
	v_add_f32_e32 v26, v132, v29
	v_fmac_f32_e32 v127, 0x3f6eb680, v42
	v_fmac_f32_e32 v20, 0xbe8c1d8e, v53
	v_add_f32_e32 v24, v25, v24
	v_fma_f32 v25, 0xbf7ba420, v52, -v153
	v_fma_f32 v27, 0xbe8c1d8e, v40, -v154
	v_add_f32_e32 v26, v127, v26
	v_fmac_f32_e32 v128, 0xbf59a7d5, v44
	v_add_f32_e32 v21, v20, v21
	v_add_f32_e32 v20, v25, v24
	;; [unrolled: 1-line block ×3, first 2 shown]
	v_fma_f32 v25, 0xbf59a7d5, v41, -v163
	v_add_f32_e32 v26, v128, v26
	v_fmac_f32_e32 v33, 0x3dbcf732, v46
	v_fmac_f32_e32 v146, 0xbe8c1d8e, v38
	;; [unrolled: 1-line block ×3, first 2 shown]
	v_add_f32_e32 v24, v25, v24
	v_fma_f32 v25, 0x3f3d2fb0, v43, -v156
	v_add_f32_e32 v26, v33, v26
	v_add_f32_e32 v28, v146, v4
	v_fmac_f32_e32 v147, 0xbf59a7d5, v39
	v_fma_f32 v27, 0x3ee437d1, v54, -v143
	v_add_f32_e32 v24, v25, v24
	v_fma_f32 v25, 0x3ee437d1, v45, -v157
	v_add_f32_e32 v26, v34, v26
	v_fmac_f32_e32 v32, 0xbf7ba420, v51
	v_add_f32_e32 v28, v147, v28
	v_fmac_f32_e32 v148, 0x3f3d2fb0, v42
	v_add_f32_e32 v25, v25, v24
	v_fma_f32 v29, 0xbf7ba420, v47, -v158
	v_add_f32_e32 v24, v27, v20
	v_add_f32_e32 v20, v32, v26
	;; [unrolled: 1-line block ×3, first 2 shown]
	v_fmac_f32_e32 v139, 0x3ee437d1, v44
	v_add_f32_e32 v25, v29, v25
	v_fma_f32 v27, 0x3dbcf732, v50, -v159
	v_fma_f32 v28, 0x3dbcf732, v40, -v162
	v_fmac_f32_e32 v23, 0x3ee437d1, v53
	v_add_f32_e32 v26, v139, v26
	v_fmac_f32_e32 v140, 0xbf7ba420, v46
	v_add_f32_e32 v25, v27, v25
	v_fma_f32 v27, 0x3f6eb680, v52, -v149
	v_add_f32_e32 v28, v28, v5
	v_fma_f32 v29, 0xbf7ba420, v41, -v170
	v_add_f32_e32 v26, v140, v26
	v_fmac_f32_e32 v141, 0x3dbcf732, v49
	v_add_f32_e32 v23, v23, v20
	v_add_f32_e32 v20, v27, v25
	;; [unrolled: 1-line block ×3, first 2 shown]
	v_fma_f32 v27, 0xbe8c1d8e, v43, -v171
	v_add_f32_e32 v26, v141, v26
	v_fmac_f32_e32 v133, 0x3f6eb680, v51
	v_fma_f32 v28, 0xbf1a4643, v54, -v142
	v_fmac_f32_e32 v136, 0xbf1a4643, v53
	v_add_f32_e32 v25, v27, v25
	v_fma_f32 v27, 0x3f6eb680, v45, -v164
	v_add_f32_e32 v29, v133, v26
	v_fma_f32 v31, 0x3ee437d1, v47, -v165
	;; [unrolled: 2-line block ×3, first 2 shown]
	v_add_f32_e32 v27, v27, v25
	v_add_f32_e32 v25, v136, v29
	v_fma_f32 v29, 0x3ee437d1, v40, -v169
	v_fmac_f32_e32 v160, 0x3dbcf732, v38
	v_fmac_f32_e32 v167, 0x3ee437d1, v38
	v_add_f32_e32 v27, v31, v27
	v_fmac_f32_e32 v161, 0xbf7ba420, v39
	v_add_f32_e32 v5, v29, v5
	v_add_f32_e32 v30, v160, v4
	;; [unrolled: 1-line block ×4, first 2 shown]
	v_fma_f32 v28, 0xbf1a4643, v41, -v172
	v_fmac_f32_e32 v168, 0xbf1a4643, v39
	v_add_f32_e32 v20, v161, v30
	v_fmac_f32_e32 v145, 0xbe8c1d8e, v42
	v_fmac_f32_e32 v93, 0xbf7ba420, v42
	v_add_f32_e32 v5, v28, v5
	v_fma_f32 v28, 0xbf7ba420, v43, -v173
	v_add_f32_e32 v4, v168, v4
	v_add_f32_e32 v20, v145, v20
	v_fmac_f32_e32 v137, 0x3f6eb680, v44
	v_fmac_f32_e32 v106, 0xbe8c1d8e, v44
	v_add_f32_e32 v5, v28, v5
	v_fma_f32 v28, 0xbe8c1d8e, v45, -v110
	v_add_f32_e32 v4, v93, v4
	;; [unrolled: 6-line block ×4, first 2 shown]
	v_fma_f32 v29, 0xbf1a4643, v52, -v144
	v_add_f32_e32 v20, v131, v20
	v_fmac_f32_e32 v37, 0xbf1a4643, v51
	v_add_f32_e32 v5, v28, v5
	v_mul_lo_u16 v28, v104, 17
	v_fma_f32 v30, 0x3dbcf732, v52, -v86
	v_add_f32_e32 v4, v78, v4
	v_fmac_f32_e32 v83, 0x3dbcf732, v51
	v_fma_f32 v114, 0xbf59a7d5, v53, -v113
	v_and_b32_e32 v28, 0xffff, v28
	v_add_f32_e32 v27, v29, v27
	v_fma_f32 v29, 0x3f3d2fb0, v54, -v138
	v_add_f32_e32 v20, v37, v20
	v_fmac_f32_e32 v36, 0x3f3d2fb0, v53
	v_add_f32_e32 v30, v30, v5
	v_fma_f32 v31, 0xbf59a7d5, v54, -v90
	v_add_f32_e32 v32, v83, v4
	v_fmac_f32_e32 v113, 0xbf59a7d5, v53
	v_add_lshl_u32 v33, v48, v28, 3
	v_add_f32_e32 v18, v114, v18
	v_add_f32_e32 v56, v72, v69
	;; [unrolled: 1-line block ×6, first 2 shown]
	ds_write2_b64 v33, v[10:11], v[57:58] offset1:1
	ds_write2_b64 v33, v[55:56], v[18:19] offset0:2 offset1:3
	ds_write2_b64 v33, v[16:17], v[14:15] offset0:4 offset1:5
	;; [unrolled: 1-line block ×7, first 2 shown]
	ds_write_b64 v33, v[2:3] offset:128
.LBB0_7:
	s_or_b32 exec_lo, exec_lo, s4
	v_and_b32_e32 v4, 0xff, v104
	v_add_co_u32 v50, null, 0x55, v104
	v_add_co_u32 v49, null, 0xaa, v104
	v_mul_lo_u16 v4, 0xf1, v4
	v_and_b32_e32 v51, 0xff, v50
	v_mov_b32_e32 v5, 0xf0f1
	v_and_b32_e32 v52, 0xff, v49
	v_add_co_u32 v9, null, 0x154, v104
	v_lshrrev_b16 v59, 12, v4
	v_add_co_u32 v4, null, 0xff, v104
	v_mul_lo_u16 v7, 0xf1, v51
	s_load_dwordx4 s[4:7], s[0:1], 0x0
	v_mul_lo_u16 v6, v59, 17
	v_mul_u32_u24_sdwa v8, v4, v5 dst_sel:DWORD dst_unused:UNUSED_PAD src0_sel:WORD_0 src1_sel:DWORD
	v_mul_u32_u24_sdwa v5, v9, v5 dst_sel:DWORD dst_unused:UNUSED_PAD src0_sel:WORD_0 src1_sel:DWORD
	v_lshrrev_b16 v61, 12, v7
	v_mov_b32_e32 v7, 4
	v_sub_nc_u16 v60, v104, v6
	v_mul_lo_u16 v6, 0xf1, v52
	v_lshrrev_b32_e32 v62, 20, v8
	v_mul_lo_u16 v8, v61, 17
	v_lshrrev_b32_e32 v66, 20, v5
	v_lshlrev_b32_sdwa v10, v7, v60 dst_sel:DWORD dst_unused:UNUSED_PAD src0_sel:DWORD src1_sel:BYTE_0
	v_lshrrev_b16 v65, 12, v6
	v_mul_lo_u16 v6, v62, 17
	v_sub_nc_u16 v67, v50, v8
	s_waitcnt lgkmcnt(0)
	s_barrier
	v_mul_lo_u16 v5, v65, 17
	v_sub_nc_u16 v68, v4, v6
	v_mul_lo_u16 v4, v66, 17
	buffer_gl0_inv
	global_load_dwordx4 v[16:19], v10, s[2:3]
	v_sub_nc_u16 v69, v49, v5
	v_lshlrev_b32_sdwa v5, v7, v67 dst_sel:DWORD dst_unused:UNUSED_PAD src0_sel:DWORD src1_sel:BYTE_0
	v_sub_nc_u16 v70, v9, v4
	v_lshlrev_b16 v6, 1, v68
	v_mov_b32_e32 v4, 3
	v_lshlrev_b32_sdwa v7, v7, v69 dst_sel:DWORD dst_unused:UNUSED_PAD src0_sel:DWORD src1_sel:BYTE_0
	global_load_dwordx4 v[20:23], v5, s[2:3]
	v_add_lshl_u32 v106, v48, v104, 3
	v_add_co_u32 v32, s0, 0xffffffcd, v104
	global_load_dwordx4 v[12:15], v7, s[2:3]
	v_lshlrev_b16 v5, 1, v70
	v_lshlrev_b32_sdwa v6, v4, v6 dst_sel:DWORD dst_unused:UNUSED_PAD src0_sel:DWORD src1_sel:WORD_0
	v_add_co_ci_u32_e64 v33, null, 0, -1, s0
	v_add_nc_u32_e32 v77, 0x800, v106
	v_lshlrev_b32_sdwa v4, v4, v5 dst_sel:DWORD dst_unused:UNUSED_PAD src0_sel:DWORD src1_sel:WORD_0
	s_clause 0x1
	global_load_dwordx4 v[8:11], v6, s[2:3]
	global_load_dwordx4 v[4:7], v4, s[2:3]
	v_cmp_gt_u16_e64 s0, 51, v104
	v_add_nc_u32_e32 v76, 0x1800, v106
	v_add_nc_u32_e32 v79, 0xc00, v106
	v_mov_b32_e32 v71, 51
	v_add_nc_u32_e32 v78, 0x1c00, v106
	ds_read2_b64 v[24:27], v106 offset1:85
	ds_read2_b64 v[28:31], v106 offset0:170 offset1:255
	v_add_nc_u32_e32 v80, 0x1000, v106
	ds_read_b64 v[55:56], v106 offset:9520
	v_cndmask_b32_e64 v64, v33, 0, s0
	v_cndmask_b32_e64 v63, v32, v104, s0
	ds_read2_b64 v[32:35], v77 offset0:84 offset1:169
	ds_read2_b64 v[36:39], v76 offset0:82 offset1:167
	;; [unrolled: 1-line block ×4, first 2 shown]
	v_mul_u32_u24_sdwa v59, v59, v71 dst_sel:DWORD dst_unused:UNUSED_PAD src0_sel:WORD_0 src1_sel:DWORD
	v_mul_lo_u16 v73, 0xa1, v51
	v_mul_lo_u16 v74, 0xa1, v52
	ds_read2_b64 v[51:54], v80 offset0:168 offset1:253
	v_mul_u32_u24_sdwa v61, v61, v71 dst_sel:DWORD dst_unused:UNUSED_PAD src0_sel:WORD_0 src1_sel:DWORD
	v_add_nc_u32_sdwa v59, v59, v60 dst_sel:DWORD dst_unused:UNUSED_PAD src0_sel:DWORD src1_sel:BYTE_0
	v_mul_u32_u24_sdwa v60, v65, v71 dst_sel:DWORD dst_unused:UNUSED_PAD src0_sel:WORD_0 src1_sel:DWORD
	v_mad_u16 v62, v62, 51, v68
	v_lshlrev_b64 v[57:58], 5, v[63:64]
	v_lshrrev_b16 v64, 13, v73
	v_mad_u16 v65, v66, 51, v70
	v_add_lshl_u32 v114, v48, v59, 3
	v_add_nc_u32_sdwa v59, v61, v67 dst_sel:DWORD dst_unused:UNUSED_PAD src0_sel:DWORD src1_sel:BYTE_0
	v_add_nc_u32_sdwa v60, v60, v69 dst_sel:DWORD dst_unused:UNUSED_PAD src0_sel:DWORD src1_sel:BYTE_0
	v_and_b32_e32 v61, 0xffff, v62
	v_lshrrev_b16 v73, 13, v74
	v_mul_lo_u16 v74, v64, 51
	v_and_b32_e32 v62, 0xffff, v65
	v_add_lshl_u32 v115, v48, v59, 3
	v_add_lshl_u32 v112, v48, v60, 3
	;; [unrolled: 1-line block ×3, first 2 shown]
	v_sub_nc_u16 v68, v50, v74
	v_add_lshl_u32 v109, v48, v62, 3
	s_waitcnt vmcnt(0) lgkmcnt(0)
	s_barrier
	buffer_gl0_inv
	v_mov_b32_e32 v72, 5
	v_add_co_u32 v57, s0, s2, v57
	v_add_co_ci_u32_e64 v58, s0, s3, v58, s0
	v_cmp_lt_u16_e64 s0, 50, v104
	v_mul_f32_e32 v59, v35, v17
	v_mul_f32_e32 v60, v34, v17
	;; [unrolled: 1-line block ×4, first 2 shown]
	v_fma_f32 v34, v34, v16, -v59
	v_fmac_f32_e32 v60, v35, v16
	v_fma_f32 v35, v36, v18, -v61
	v_fmac_f32_e32 v65, v37, v18
	v_mul_f32_e32 v36, v41, v21
	v_mul_f32_e32 v37, v40, v21
	;; [unrolled: 1-line block ×8, first 2 shown]
	v_fma_f32 v36, v40, v20, -v36
	v_fmac_f32_e32 v37, v41, v20
	v_fma_f32 v38, v38, v22, -v59
	v_mul_f32_e32 v74, v47, v11
	v_mul_f32_e32 v70, v52, v9
	;; [unrolled: 1-line block ×8, first 2 shown]
	v_fmac_f32_e32 v61, v39, v22
	v_fma_f32 v39, v42, v12, -v62
	v_fma_f32 v42, v46, v10, -v74
	v_add_f32_e32 v46, v34, v35
	v_fmac_f32_e32 v66, v43, v12
	v_fma_f32 v40, v44, v14, -v67
	v_fmac_f32_e32 v69, v45, v14
	v_fma_f32 v41, v51, v8, -v70
	v_add_f32_e32 v45, v24, v34
	v_add_f32_e32 v51, v25, v60
	v_fmac_f32_e32 v71, v52, v8
	v_fmac_f32_e32 v75, v47, v10
	v_fma_f32 v43, v53, v4, -v81
	v_fmac_f32_e32 v82, v54, v4
	v_fma_f32 v44, v55, v6, -v83
	v_fmac_f32_e32 v84, v56, v6
	v_add_f32_e32 v52, v60, v65
	v_fma_f32 v24, -0.5, v46, v24
	v_add_f32_e32 v46, v36, v38
	v_add_f32_e32 v54, v37, v61
	v_sub_f32_e32 v47, v60, v65
	v_sub_f32_e32 v53, v34, v35
	v_add_f32_e32 v34, v45, v35
	v_add_f32_e32 v35, v51, v65
	;; [unrolled: 1-line block ×4, first 2 shown]
	v_fma_f32 v25, -0.5, v52, v25
	v_add_f32_e32 v70, v41, v42
	v_sub_f32_e32 v74, v71, v75
	v_add_f32_e32 v81, v31, v71
	v_add_f32_e32 v71, v71, v75
	;; [unrolled: 1-line block ×3, first 2 shown]
	v_sub_f32_e32 v87, v82, v84
	v_add_f32_e32 v88, v33, v82
	v_add_f32_e32 v82, v82, v84
	v_add_f32_e32 v45, v26, v36
	v_sub_f32_e32 v51, v37, v61
	v_add_f32_e32 v52, v27, v37
	v_sub_f32_e32 v55, v36, v38
	v_fma_f32 v26, -0.5, v46, v26
	v_fmac_f32_e32 v27, -0.5, v54
	v_add_f32_e32 v56, v28, v39
	v_sub_f32_e32 v60, v66, v69
	v_add_f32_e32 v62, v29, v66
	v_sub_f32_e32 v66, v39, v40
	v_fma_f32 v28, -0.5, v59, v28
	v_fma_f32 v29, -0.5, v65, v29
	v_add_f32_e32 v67, v30, v41
	v_sub_f32_e32 v83, v41, v42
	v_add_f32_e32 v85, v32, v43
	v_sub_f32_e32 v89, v43, v44
	v_fmamk_f32 v36, v47, 0x3f5db3d7, v24
	v_fmamk_f32 v37, v53, 0xbf5db3d7, v25
	v_fma_f32 v30, -0.5, v70, v30
	v_fmac_f32_e32 v31, -0.5, v71
	v_fma_f32 v32, -0.5, v86, v32
	v_fmac_f32_e32 v33, -0.5, v82
	v_fmac_f32_e32 v24, 0xbf5db3d7, v47
	v_fmac_f32_e32 v25, 0x3f5db3d7, v53
	v_add_f32_e32 v38, v45, v38
	v_add_f32_e32 v39, v52, v61
	v_fmamk_f32 v46, v51, 0x3f5db3d7, v26
	v_fmamk_f32 v47, v55, 0xbf5db3d7, v27
	v_fmac_f32_e32 v26, 0xbf5db3d7, v51
	v_fmac_f32_e32 v27, 0x3f5db3d7, v55
	v_add_f32_e32 v40, v56, v40
	v_add_f32_e32 v41, v62, v69
	v_fmamk_f32 v51, v60, 0x3f5db3d7, v28
	v_fmamk_f32 v52, v66, 0xbf5db3d7, v29
	v_add_f32_e32 v42, v67, v42
	v_add_f32_e32 v43, v81, v75
	;; [unrolled: 1-line block ×4, first 2 shown]
	v_fmac_f32_e32 v28, 0xbf5db3d7, v60
	v_fmac_f32_e32 v29, 0x3f5db3d7, v66
	v_fmamk_f32 v53, v74, 0x3f5db3d7, v30
	v_fmac_f32_e32 v30, 0xbf5db3d7, v74
	v_fmamk_f32 v54, v83, 0xbf5db3d7, v31
	;; [unrolled: 2-line block ×4, first 2 shown]
	v_fmac_f32_e32 v33, 0x3f5db3d7, v89
	ds_write2_b64 v114, v[34:35], v[36:37] offset1:17
	ds_write_b64 v114, v[24:25] offset:272
	ds_write2_b64 v115, v[38:39], v[46:47] offset1:17
	ds_write_b64 v115, v[26:27] offset:272
	;; [unrolled: 2-line block ×5, first 2 shown]
	v_mul_lo_u16 v24, v73, 51
	v_lshlrev_b32_sdwa v25, v72, v68 dst_sel:DWORD dst_unused:UNUSED_PAD src0_sel:DWORD src1_sel:BYTE_0
	s_waitcnt lgkmcnt(0)
	s_barrier
	buffer_gl0_inv
	v_sub_nc_u16 v71, v49, v24
	s_clause 0x2
	global_load_dwordx4 v[44:47], v[57:58], off offset:272
	global_load_dwordx4 v[36:39], v25, s[2:3] offset:272
	global_load_dwordx4 v[40:43], v[57:58], off offset:288
	v_mov_b32_e32 v59, 0xff
	v_lshlrev_b32_sdwa v24, v72, v71 dst_sel:DWORD dst_unused:UNUSED_PAD src0_sel:DWORD src1_sel:BYTE_0
	s_clause 0x2
	global_load_dwordx4 v[32:35], v25, s[2:3] offset:288
	global_load_dwordx4 v[28:31], v24, s[2:3] offset:272
	;; [unrolled: 1-line block ×3, first 2 shown]
	v_cndmask_b32_e64 v65, 0, 0xff, s0
	v_mul_u32_u24_sdwa v72, v73, v59 dst_sel:DWORD dst_unused:UNUSED_PAD src0_sel:WORD_0 src1_sel:DWORD
	v_mul_u32_u24_sdwa v67, v64, v59 dst_sel:DWORD dst_unused:UNUSED_PAD src0_sel:WORD_0 src1_sel:DWORD
	ds_read2_b64 v[51:54], v106 offset0:170 offset1:255
	ds_read2_b64 v[55:58], v79 offset0:126 offset1:211
	v_add_nc_u32_e32 v73, v63, v65
	v_add_nc_u32_sdwa v81, v72, v71 dst_sel:DWORD dst_unused:UNUSED_PAD src0_sel:DWORD src1_sel:BYTE_0
	ds_read2_b64 v[59:62], v80 offset0:168 offset1:253
	ds_read2_b64 v[63:66], v78 offset0:124 offset1:209
	v_add_nc_u32_sdwa v75, v67, v68 dst_sel:DWORD dst_unused:UNUSED_PAD src0_sel:DWORD src1_sel:BYTE_0
	ds_read2_b64 v[67:70], v77 offset0:84 offset1:169
	v_add_lshl_u32 v113, v48, v73, 3
	ds_read2_b64 v[71:74], v76 offset0:82 offset1:167
	v_add_lshl_u32 v108, v48, v81, 3
	ds_read2_b64 v[81:84], v106 offset1:85
	ds_read_b64 v[85:86], v106 offset:9520
	v_add_lshl_u32 v110, v48, v75, 3
	v_lshlrev_b32_e32 v87, 5, v104
	v_lshlrev_b32_e32 v49, 5, v49
	s_waitcnt vmcnt(0) lgkmcnt(0)
	s_barrier
	buffer_gl0_inv
	v_mul_f32_e32 v48, v54, v45
	v_mul_f32_e32 v75, v53, v45
	;; [unrolled: 1-line block ×24, first 2 shown]
	v_fma_f32 v48, v53, v44, -v48
	v_fmac_f32_e32 v75, v54, v44
	v_fma_f32 v53, v55, v46, -v88
	v_fmac_f32_e32 v89, v56, v46
	;; [unrolled: 2-line block ×12, first 2 shown]
	v_add_f32_e32 v56, v81, v48
	v_add_f32_e32 v58, v53, v61
	v_sub_f32_e32 v60, v48, v53
	v_sub_f32_e32 v62, v88, v61
	v_add_f32_e32 v66, v82, v75
	v_add_f32_e32 v68, v89, v91
	v_add_f32_e32 v63, v48, v88
	v_add_f32_e32 v72, v75, v93
	v_sub_f32_e32 v64, v53, v48
	v_sub_f32_e32 v65, v61, v88
	v_add_f32_e32 v94, v83, v54
	v_add_f32_e32 v96, v57, v67
	v_add_f32_e32 v124, v84, v95
	v_add_f32_e32 v125, v97, v99
	v_sub_f32_e32 v70, v75, v89
	v_sub_f32_e32 v71, v93, v91
	v_add_f32_e32 v119, v54, v90
	v_add_f32_e32 v130, v95, v102
	v_add_f32_e32 v132, v51, v55
	v_add_f32_e32 v133, v59, v69
	;; [unrolled: 1-line block ×6, first 2 shown]
	v_sub_f32_e32 v74, v75, v93
	v_sub_f32_e32 v48, v48, v88
	;; [unrolled: 1-line block ×8, first 2 shown]
	v_add_f32_e32 v149, v56, v53
	v_fma_f32 v53, -0.5, v58, v81
	v_add_f32_e32 v150, v60, v62
	v_add_f32_e32 v62, v66, v89
	v_fma_f32 v54, -0.5, v68, v82
	v_sub_f32_e32 v86, v89, v91
	v_sub_f32_e32 v136, v55, v59
	;; [unrolled: 1-line block ×4, first 2 shown]
	v_fma_f32 v55, -0.5, v63, v81
	v_fma_f32 v56, -0.5, v72, v82
	v_sub_f32_e32 v98, v95, v102
	v_sub_f32_e32 v127, v57, v67
	v_add_f32_e32 v151, v64, v65
	v_add_f32_e32 v65, v94, v57
	v_fma_f32 v57, -0.5, v96, v83
	v_add_f32_e32 v66, v124, v97
	v_fma_f32 v58, -0.5, v125, v84
	v_sub_f32_e32 v101, v97, v99
	v_sub_f32_e32 v134, v116, v122
	;; [unrolled: 1-line block ×4, first 2 shown]
	v_add_f32_e32 v89, v70, v71
	v_fma_f32 v83, -0.5, v119, v83
	v_fmac_f32_e32 v84, -0.5, v130
	v_add_f32_e32 v70, v132, v59
	v_fma_f32 v59, -0.5, v133, v51
	v_fma_f32 v51, -0.5, v138, v51
	v_add_f32_e32 v72, v141, v118
	v_fma_f32 v60, -0.5, v142, v52
	v_fmac_f32_e32 v52, -0.5, v147
	v_add_f32_e32 v75, v73, v75
	v_add_f32_e32 v73, v149, v61
	v_fmamk_f32 v61, v74, 0x3f737871, v53
	v_add_f32_e32 v81, v62, v91
	v_fmamk_f32 v62, v48, 0xbf737871, v54
	v_fmamk_f32 v63, v86, 0xbf737871, v55
	v_fmac_f32_e32 v55, 0x3f737871, v86
	v_fmamk_f32 v64, v92, 0x3f737871, v56
	v_fmac_f32_e32 v56, 0xbf737871, v92
	v_fmac_f32_e32 v53, 0xbf737871, v74
	;; [unrolled: 1-line block ×3, first 2 shown]
	v_sub_f32_e32 v117, v90, v67
	v_sub_f32_e32 v128, v95, v97
	v_sub_f32_e32 v129, v102, v99
	v_add_f32_e32 v82, v65, v67
	v_fmamk_f32 v65, v98, 0x3f737871, v57
	v_add_f32_e32 v91, v66, v99
	v_fmamk_f32 v66, v126, 0xbf737871, v58
	v_sub_f32_e32 v123, v67, v90
	v_sub_f32_e32 v95, v97, v95
	v_sub_f32_e32 v131, v99, v102
	v_sub_f32_e32 v137, v85, v69
	v_sub_f32_e32 v140, v69, v85
	v_sub_f32_e32 v145, v116, v118
	v_sub_f32_e32 v146, v122, v120
	v_sub_f32_e32 v116, v118, v116
	v_sub_f32_e32 v148, v120, v122
	v_fmac_f32_e32 v57, 0xbf737871, v98
	v_fmamk_f32 v67, v101, 0xbf737871, v83
	v_fmac_f32_e32 v83, 0x3f737871, v101
	v_fmac_f32_e32 v58, 0x3f737871, v126
	v_fmamk_f32 v68, v127, 0x3f737871, v84
	v_fmac_f32_e32 v84, 0xbf737871, v127
	v_add_f32_e32 v99, v70, v69
	v_fmamk_f32 v69, v134, 0x3f737871, v59
	v_fmac_f32_e32 v59, 0xbf737871, v134
	v_fmamk_f32 v71, v135, 0xbf737871, v51
	v_fmac_f32_e32 v51, 0x3f737871, v135
	v_add_f32_e32 v119, v72, v120
	v_fmamk_f32 v70, v143, 0xbf737871, v60
	v_fmac_f32_e32 v60, 0x3f737871, v143
	v_fmamk_f32 v72, v144, 0x3f737871, v52
	v_fmac_f32_e32 v52, 0xbf737871, v144
	v_fmac_f32_e32 v61, 0x3f167918, v86
	;; [unrolled: 1-line block ×9, first 2 shown]
	v_add_f32_e32 v94, v107, v117
	v_add_f32_e32 v97, v128, v129
	v_fmac_f32_e32 v65, 0x3f167918, v101
	v_fmac_f32_e32 v66, 0xbf167918, v127
	v_add_f32_e32 v96, v121, v123
	v_add_f32_e32 v95, v95, v131
	;; [unrolled: 1-line block ×6, first 2 shown]
	v_fmac_f32_e32 v57, 0xbf167918, v101
	v_fmac_f32_e32 v67, 0x3f167918, v98
	;; [unrolled: 1-line block ×13, first 2 shown]
	v_add_f32_e32 v73, v73, v88
	v_add_f32_e32 v74, v81, v93
	v_fmac_f32_e32 v72, 0xbf167918, v143
	v_fmac_f32_e32 v61, 0x3e9e377a, v150
	;; [unrolled: 1-line block ×3, first 2 shown]
	v_lshlrev_b32_e32 v48, 5, v50
	v_fmac_f32_e32 v63, 0x3e9e377a, v151
	v_fmac_f32_e32 v55, 0x3e9e377a, v151
	;; [unrolled: 1-line block ×6, first 2 shown]
	v_add_f32_e32 v81, v82, v90
	v_add_f32_e32 v82, v91, v102
	v_fmac_f32_e32 v65, 0x3e9e377a, v94
	v_fmac_f32_e32 v66, 0x3e9e377a, v97
	;; [unrolled: 1-line block ×15, first 2 shown]
	v_add_f32_e32 v85, v99, v85
	v_add_f32_e32 v86, v119, v122
	v_fmac_f32_e32 v72, 0x3e9e377a, v116
	ds_write2_b64 v113, v[73:74], v[61:62] offset1:51
	ds_write2_b64 v113, v[63:64], v[55:56] offset0:102 offset1:153
	ds_write_b64 v113, v[53:54] offset:1632
	ds_write2_b64 v110, v[81:82], v[65:66] offset1:51
	ds_write2_b64 v110, v[67:68], v[83:84] offset0:102 offset1:153
	ds_write_b64 v110, v[57:58] offset:1632
	;; [unrolled: 3-line block ×3, first 2 shown]
	s_waitcnt lgkmcnt(0)
	s_barrier
	buffer_gl0_inv
	s_clause 0x5
	global_load_dwordx4 v[64:67], v87, s[2:3] offset:1904
	global_load_dwordx4 v[68:71], v87, s[2:3] offset:1920
	;; [unrolled: 1-line block ×6, first 2 shown]
	ds_read2_b64 v[72:75], v106 offset0:170 offset1:255
	ds_read2_b64 v[84:87], v79 offset0:126 offset1:211
	;; [unrolled: 1-line block ×6, first 2 shown]
	ds_read2_b64 v[80:83], v106 offset1:85
	ds_read_b64 v[101:102], v106 offset:9520
	v_lshl_add_u32 v107, v104, 3, v105
	v_lshl_add_u32 v116, v104, 3, v105
	v_add_nc_u32_e32 v117, 0x400, v107
	v_add_nc_u32_e32 v118, 0x800, v107
	;; [unrolled: 1-line block ×6, first 2 shown]
	s_waitcnt vmcnt(2) lgkmcnt(2)
	v_mul_f32_e32 v135, v77, v61
	v_mul_f32_e32 v123, v75, v65
	;; [unrolled: 1-line block ×16, first 2 shown]
	s_waitcnt vmcnt(1)
	v_mul_f32_e32 v139, v99, v57
	v_mul_f32_e32 v140, v98, v57
	;; [unrolled: 1-line block ×4, first 2 shown]
	s_waitcnt vmcnt(0)
	v_mul_f32_e32 v143, v79, v49
	v_mul_f32_e32 v144, v78, v49
	s_waitcnt lgkmcnt(0)
	v_mul_f32_e32 v145, v102, v51
	v_mul_f32_e32 v146, v101, v51
	v_fma_f32 v74, v74, v64, -v123
	v_fmac_f32_e32 v124, v75, v64
	v_fma_f32 v75, v84, v66, -v125
	v_fmac_f32_e32 v126, v85, v66
	v_fma_f32 v90, v90, v68, -v127
	v_fmac_f32_e32 v128, v91, v68
	v_fma_f32 v123, v92, v70, -v129
	v_fmac_f32_e32 v130, v93, v70
	v_fma_f32 v84, v96, v52, -v131
	v_fmac_f32_e32 v132, v97, v52
	v_fma_f32 v91, v86, v54, -v133
	v_fmac_f32_e32 v134, v87, v54
	v_fma_f32 v96, v76, v60, -v135
	v_fmac_f32_e32 v136, v77, v60
	v_fma_f32 v94, v94, v62, -v137
	v_fmac_f32_e32 v138, v95, v62
	v_fma_f32 v76, v98, v56, -v139
	v_fmac_f32_e32 v140, v99, v56
	v_fma_f32 v77, v88, v58, -v141
	v_fmac_f32_e32 v142, v89, v58
	v_fma_f32 v88, v78, v48, -v143
	v_fmac_f32_e32 v144, v79, v48
	v_fma_f32 v95, v101, v50, -v145
	v_fmac_f32_e32 v146, v102, v50
	v_add_f32_e32 v78, v80, v74
	v_add_f32_e32 v79, v75, v90
	v_sub_f32_e32 v85, v74, v75
	v_sub_f32_e32 v87, v123, v90
	v_add_f32_e32 v89, v74, v123
	v_sub_f32_e32 v92, v75, v74
	v_sub_f32_e32 v93, v90, v123
	v_add_f32_e32 v98, v81, v124
	v_add_f32_e32 v99, v126, v128
	v_sub_f32_e32 v125, v74, v123
	v_sub_f32_e32 v74, v124, v126
	;; [unrolled: 1-line block ×3, first 2 shown]
	v_add_f32_e32 v129, v124, v130
	v_add_f32_e32 v133, v82, v84
	;; [unrolled: 1-line block ×13, first 2 shown]
	v_sub_f32_e32 v97, v124, v130
	v_sub_f32_e32 v102, v126, v128
	v_sub_f32_e32 v127, v75, v90
	v_sub_f32_e32 v124, v126, v124
	v_sub_f32_e32 v137, v132, v138
	v_sub_f32_e32 v139, v134, v136
	v_sub_f32_e32 v141, v84, v91
	v_sub_f32_e32 v143, v94, v96
	v_sub_f32_e32 v147, v91, v84
	v_sub_f32_e32 v151, v84, v94
	v_sub_f32_e32 v152, v91, v96
	v_sub_f32_e32 v159, v140, v146
	v_sub_f32_e32 v160, v142, v144
	v_sub_f32_e32 v161, v76, v77
	v_sub_f32_e32 v164, v77, v76
	v_sub_f32_e32 v168, v76, v95
	v_sub_f32_e32 v169, v77, v88
	v_sub_f32_e32 v76, v140, v142
	v_sub_f32_e32 v170, v146, v144
	v_add_f32_e32 v78, v78, v75
	v_fma_f32 v86, -0.5, v79, v80
	v_add_f32_e32 v173, v85, v87
	v_fma_f32 v84, -0.5, v89, v80
	v_add_f32_e32 v174, v92, v93
	v_add_f32_e32 v79, v98, v126
	v_fma_f32 v87, -0.5, v99, v81
	v_add_f32_e32 v126, v74, v101
	v_fma_f32 v85, -0.5, v129, v81
	;; [unrolled: 2-line block ×3, first 2 shown]
	v_fma_f32 v82, -0.5, v145, v82
	v_add_f32_e32 v81, v149, v134
	v_fma_f32 v93, -0.5, v150, v83
	v_fmac_f32_e32 v83, -0.5, v155
	v_add_f32_e32 v89, v157, v77
	v_fma_f32 v74, -0.5, v158, v72
	v_fma_f32 v72, -0.5, v163, v72
	v_add_f32_e32 v91, v166, v142
	v_fma_f32 v75, -0.5, v167, v73
	v_fmac_f32_e32 v73, -0.5, v171
	v_sub_f32_e32 v131, v128, v130
	v_sub_f32_e32 v148, v96, v94
	;; [unrolled: 1-line block ×10, first 2 shown]
	v_add_f32_e32 v129, v141, v143
	v_add_f32_e32 v141, v76, v170
	;; [unrolled: 1-line block ×3, first 2 shown]
	v_fmamk_f32 v76, v97, 0x3f737871, v86
	v_fmac_f32_e32 v86, 0xbf737871, v97
	v_fmamk_f32 v78, v102, 0xbf737871, v84
	v_fmac_f32_e32 v84, 0x3f737871, v102
	v_add_f32_e32 v128, v79, v128
	v_fmamk_f32 v77, v125, 0xbf737871, v87
	v_fmac_f32_e32 v87, 0x3f737871, v125
	v_fmamk_f32 v79, v127, 0x3f737871, v85
	v_fmac_f32_e32 v85, 0xbf737871, v127
	v_add_f32_e32 v96, v80, v96
	v_fmamk_f32 v98, v137, 0x3f737871, v92
	v_fmac_f32_e32 v92, 0xbf737871, v137
	v_fmamk_f32 v80, v139, 0xbf737871, v82
	v_fmac_f32_e32 v82, 0x3f737871, v139
	v_add_f32_e32 v136, v81, v136
	v_fmamk_f32 v99, v151, 0xbf737871, v93
	v_fmac_f32_e32 v93, 0x3f737871, v151
	v_fmamk_f32 v81, v152, 0x3f737871, v83
	v_fmac_f32_e32 v83, 0xbf737871, v152
	v_add_f32_e32 v142, v89, v88
	v_fmamk_f32 v88, v159, 0x3f737871, v74
	v_fmac_f32_e32 v74, 0xbf737871, v159
	v_fmamk_f32 v90, v160, 0xbf737871, v72
	v_fmac_f32_e32 v72, 0x3f737871, v160
	v_add_f32_e32 v143, v91, v144
	v_fmamk_f32 v89, v168, 0xbf737871, v75
	v_fmac_f32_e32 v75, 0x3f737871, v168
	v_fmamk_f32 v91, v169, 0x3f737871, v73
	v_fmac_f32_e32 v73, 0xbf737871, v169
	v_add_f32_e32 v124, v124, v131
	v_add_f32_e32 v131, v147, v148
	v_add_f32_e32 v133, v153, v154
	v_add_f32_e32 v132, v132, v156
	v_add_f32_e32 v134, v161, v162
	v_add_f32_e32 v135, v164, v165
	v_add_f32_e32 v140, v140, v172
	v_fmac_f32_e32 v76, 0x3f167918, v102
	v_fmac_f32_e32 v86, 0xbf167918, v102
	;; [unrolled: 1-line block ×24, first 2 shown]
	v_add_f32_e32 v101, v101, v123
	v_add_f32_e32 v102, v128, v130
	;; [unrolled: 1-line block ×6, first 2 shown]
	v_fmac_f32_e32 v76, 0x3e9e377a, v173
	v_fmac_f32_e32 v86, 0x3e9e377a, v173
	;; [unrolled: 1-line block ×24, first 2 shown]
	ds_write_b64 v116, v[101:102]
	ds_write2_b64 v107, v[96:97], v[94:95] offset0:85 offset1:170
	ds_write2_b64 v117, v[76:77], v[98:99] offset0:127 offset1:212
	ds_write2_b64 v122, v[84:85], v[82:83] offset0:125 offset1:210
	ds_write2_b64 v118, v[88:89], v[78:79] offset0:169 offset1:254
	ds_write2_b64 v119, v[80:81], v[90:91] offset0:83 offset1:168
	ds_write2_b64 v120, v[72:73], v[86:87] offset0:167 offset1:252
	ds_write2_b64 v121, v[92:93], v[74:75] offset0:81 offset1:166
	s_waitcnt lgkmcnt(0)
	s_barrier
	buffer_gl0_inv
	s_and_saveexec_b32 s1, vcc_lo
	s_cbranch_execz .LBB0_9
; %bb.8:
	v_add_co_u32 v130, s0, s12, v103
	v_add_co_ci_u32_e64 v131, null, s13, 0, s0
	v_add_nc_u32_e32 v187, 0x1c00, v107
	v_add_co_u32 v122, s0, 0x2000, v130
	v_add_co_ci_u32_e64 v123, s0, 0, v131, s0
	v_add_co_u32 v124, s0, 0x27d8, v130
	v_add_co_ci_u32_e64 v125, s0, 0, v131, s0
	global_load_dwordx2 v[122:123], v[122:123], off offset:2008
	v_add_co_u32 v126, s0, 0x3000, v130
	v_add_co_ci_u32_e64 v127, s0, 0, v131, s0
	v_add_co_u32 v128, s0, 0x3800, v130
	v_add_co_ci_u32_e64 v129, s0, 0, v131, s0
	s_clause 0x5
	global_load_dwordx2 v[154:155], v[124:125], off offset:600
	global_load_dwordx2 v[156:157], v[124:125], off offset:1200
	;; [unrolled: 1-line block ×6, first 2 shown]
	v_add_co_u32 v124, s0, 0x4000, v130
	v_add_co_ci_u32_e64 v125, s0, 0, v131, s0
	v_add_co_u32 v126, s0, 0x4800, v130
	v_add_co_ci_u32_e64 v127, s0, 0, v131, s0
	s_clause 0x9
	global_load_dwordx2 v[166:167], v[128:129], off offset:64
	global_load_dwordx2 v[168:169], v[128:129], off offset:664
	;; [unrolled: 1-line block ×10, first 2 shown]
	ds_read_b64 v[124:125], v116
	s_waitcnt vmcnt(16) lgkmcnt(0)
	v_mul_f32_e32 v126, v125, v123
	v_mul_f32_e32 v127, v124, v123
	v_fma_f32 v126, v124, v122, -v126
	v_fmac_f32_e32 v127, v125, v122
	ds_write_b64 v116, v[126:127]
	ds_read2_b64 v[122:125], v107 offset0:75 offset1:150
	ds_read2_b64 v[126:129], v117 offset0:97 offset1:172
	;; [unrolled: 1-line block ×8, first 2 shown]
	s_waitcnt vmcnt(15) lgkmcnt(7)
	v_mul_f32_e32 v188, v123, v155
	v_mul_f32_e32 v186, v122, v155
	s_waitcnt vmcnt(14)
	v_mul_f32_e32 v189, v125, v157
	v_mul_f32_e32 v155, v124, v157
	s_waitcnt vmcnt(13) lgkmcnt(6)
	v_mul_f32_e32 v190, v127, v159
	v_mul_f32_e32 v157, v126, v159
	s_waitcnt vmcnt(12)
	v_mul_f32_e32 v191, v129, v161
	v_mul_f32_e32 v159, v128, v161
	;; [unrolled: 6-line block ×8, first 2 shown]
	v_fma_f32 v185, v122, v154, -v188
	v_fmac_f32_e32 v186, v123, v154
	v_fma_f32 v154, v124, v156, -v189
	v_fmac_f32_e32 v155, v125, v156
	;; [unrolled: 2-line block ×16, first 2 shown]
	ds_write2_b64 v107, v[185:186], v[154:155] offset0:75 offset1:150
	ds_write2_b64 v117, v[156:157], v[158:159] offset0:97 offset1:172
	;; [unrolled: 1-line block ×8, first 2 shown]
.LBB0_9:
	s_or_b32 exec_lo, exec_lo, s1
	s_waitcnt lgkmcnt(0)
	s_barrier
	buffer_gl0_inv
	s_and_saveexec_b32 s0, vcc_lo
	s_cbranch_execz .LBB0_11
; %bb.10:
	v_add_nc_u32_e32 v0, 0x400, v116
	v_add_nc_u32_e32 v1, 0x2000, v116
	;; [unrolled: 1-line block ×6, first 2 shown]
	ds_read_b64 v[101:102], v116
	ds_read2_b64 v[76:79], v116 offset0:75 offset1:150
	ds_read2_b64 v[84:87], v0 offset0:97 offset1:172
	;; [unrolled: 1-line block ×8, first 2 shown]
.LBB0_11:
	s_or_b32 exec_lo, exec_lo, s0
	v_add_nc_u32_e32 v118, 0x2a8, v107
	v_add_nc_u32_e32 v117, 0x550, v107
	s_waitcnt lgkmcnt(0)
	s_barrier
	buffer_gl0_inv
	s_and_saveexec_b32 s0, vcc_lo
	s_cbranch_execz .LBB0_13
; %bb.12:
	v_add_f32_e32 v120, v76, v101
	v_add_f32_e32 v119, v77, v102
	;; [unrolled: 1-line block ×3, first 2 shown]
	v_sub_f32_e32 v143, v81, v95
	v_add_f32_e32 v136, v3, v77
	v_add_f32_e32 v120, v78, v120
	;; [unrolled: 1-line block ×3, first 2 shown]
	v_sub_f32_e32 v127, v76, v2
	v_add_f32_e32 v141, v1, v79
	v_add_f32_e32 v142, v93, v83
	v_add_f32_e32 v120, v84, v120
	v_add_f32_e32 v121, v85, v119
	v_sub_f32_e32 v119, v80, v94
	v_sub_f32_e32 v187, v83, v93
	v_mul_f32_e32 v192, 0xbf7ba420, v136
	v_add_f32_e32 v122, v86, v120
	v_add_f32_e32 v121, v87, v121
	v_sub_f32_e32 v120, v82, v92
	v_sub_f32_e32 v123, v78, v0
	v_add_f32_e32 v139, v75, v85
	v_add_f32_e32 v126, v96, v122
	v_add_f32_e32 v125, v97, v121
	v_add_f32_e32 v122, v94, v80
	v_add_f32_e32 v121, v92, v82
	v_sub_f32_e32 v124, v84, v74
	v_add_f32_e32 v126, v98, v126
	v_add_f32_e32 v128, v99, v125
	v_add_f32_e32 v144, v91, v97
	v_sub_f32_e32 v125, v96, v90
	v_sub_f32_e32 v148, v97, v91
	v_add_f32_e32 v80, v80, v126
	v_add_f32_e32 v81, v81, v128
	v_sub_f32_e32 v126, v98, v88
	v_add_f32_e32 v97, v90, v96
	v_add_f32_e32 v96, v88, v98
	;; [unrolled: 1-line block ×6, first 2 shown]
	v_sub_f32_e32 v84, v87, v73
	v_add_f32_e32 v80, v92, v80
	v_add_f32_e32 v81, v93, v81
	v_sub_f32_e32 v92, v86, v72
	v_add_f32_e32 v93, v72, v86
	v_sub_f32_e32 v86, v77, v3
	v_add_f32_e32 v80, v94, v80
	v_add_f32_e32 v81, v95, v81
	;; [unrolled: 1-line block ×3, first 2 shown]
	v_sub_f32_e32 v87, v79, v1
	v_mul_f32_e32 v193, 0x3f6eb680, v141
	v_add_f32_e32 v80, v88, v80
	v_add_f32_e32 v76, v89, v81
	v_fmamk_f32 v79, v127, 0x3e3c28d5, v192
	v_mul_f32_e32 v195, 0xbe3c28d5, v86
	v_sub_f32_e32 v85, v85, v75
	v_add_f32_e32 v77, v90, v80
	v_add_f32_e32 v76, v91, v76
	v_mul_f32_e32 v194, 0xbf59a7d5, v139
	v_add_f32_e32 v88, v0, v78
	v_mul_f32_e32 v197, 0x3eb8f4ab, v87
	v_add_f32_e32 v72, v72, v77
	v_add_f32_e32 v73, v73, v76
	v_fmamk_f32 v76, v123, 0xbeb8f4ab, v193
	v_add_f32_e32 v77, v102, v79
	v_mul_f32_e32 v199, 0xbf06c442, v85
	v_add_f32_e32 v72, v74, v72
	v_fmamk_f32 v74, v94, 0xbf7ba420, v195
	v_add_f32_e32 v73, v75, v73
	v_fmamk_f32 v75, v124, 0x3f06c442, v194
	;; [unrolled: 2-line block ×3, first 2 shown]
	v_add_f32_e32 v74, v101, v74
	v_mul_f32_e32 v196, 0x3f3d2fb0, v149
	v_mul_f32_e32 v201, 0x3f2c7751, v84
	v_add_f32_e32 v75, v75, v76
	v_fmamk_f32 v76, v98, 0xbf59a7d5, v199
	v_add_f32_e32 v74, v77, v74
	v_add_f32_e32 v147, v89, v99
	v_sub_f32_e32 v191, v99, v89
	v_mul_f32_e32 v198, 0xbf1a4643, v144
	v_fmamk_f32 v78, v92, 0xbf2c7751, v196
	v_add_f32_e32 v1, v1, v73
	v_add_f32_e32 v0, v0, v72
	;; [unrolled: 1-line block ×3, first 2 shown]
	v_fmamk_f32 v74, v93, 0x3f3d2fb0, v201
	v_mul_f32_e32 v202, 0xbf4c4adb, v148
	v_mul_f32_e32 v200, 0x3ee437d1, v147
	v_fmamk_f32 v72, v125, 0x3f4c4adb, v198
	v_add_f32_e32 v75, v78, v75
	v_add_f32_e32 v1, v3, v1
	v_add_f32_e32 v0, v2, v0
	v_add_f32_e32 v2, v74, v73
	v_fmamk_f32 v3, v97, 0xbf1a4643, v202
	v_mul_f32_e32 v203, 0x3f65296c, v191
	v_fmamk_f32 v73, v126, 0xbf65296c, v200
	v_add_f32_e32 v72, v72, v75
	v_mul_f32_e32 v204, 0xbe8c1d8e, v135
	v_add_f32_e32 v2, v3, v2
	v_fmamk_f32 v3, v96, 0x3ee437d1, v203
	v_mul_f32_e32 v205, 0xbf763a35, v143
	v_add_f32_e32 v72, v73, v72
	v_fmamk_f32 v73, v119, 0x3f763a35, v204
	v_mul_f32_e32 v206, 0x3dbcf732, v142
	v_add_f32_e32 v2, v3, v2
	v_fmamk_f32 v3, v122, 0xbe8c1d8e, v205
	v_mul_f32_e32 v207, 0x3f7ee86f, v187
	v_add_f32_e32 v72, v73, v72
	v_mul_f32_e32 v208, 0xbf59a7d5, v136
	v_mul_f32_e32 v209, 0x3ee437d1, v141
	v_add_f32_e32 v2, v3, v2
	v_fmamk_f32 v3, v120, 0xbf7ee86f, v206
	v_fmamk_f32 v73, v121, 0x3dbcf732, v207
	v_mul_f32_e32 v210, 0x3dbcf732, v139
	v_mul_f32_e32 v211, 0xbf1a4643, v149
	;; [unrolled: 1-line block ×3, first 2 shown]
	v_add_f32_e32 v3, v3, v72
	v_fmamk_f32 v72, v127, 0x3f06c442, v208
	v_add_f32_e32 v2, v73, v2
	v_fmamk_f32 v73, v123, 0xbf65296c, v209
	v_mul_f32_e32 v213, 0xbf7ba420, v147
	v_mul_f32_e32 v214, 0xbf06c442, v86
	v_add_f32_e32 v72, v102, v72
	v_mul_f32_e32 v215, 0x3f65296c, v87
	v_mul_f32_e32 v216, 0x3f3d2fb0, v135
	;; [unrolled: 1-line block ×4, first 2 shown]
	v_add_f32_e32 v72, v73, v72
	v_fmamk_f32 v73, v124, 0x3f7ee86f, v210
	v_fmamk_f32 v74, v88, 0x3ee437d1, v215
	v_mul_f32_e32 v219, 0xbeb8f4ab, v148
	v_mul_f32_e32 v220, 0xbe3c28d5, v191
	;; [unrolled: 1-line block ×3, first 2 shown]
	v_add_f32_e32 v72, v73, v72
	v_fmamk_f32 v73, v92, 0xbf4c4adb, v211
	v_mul_f32_e32 v222, 0xbe8c1d8e, v142
	v_mul_f32_e32 v223, 0xbf763a35, v187
	;; [unrolled: 1-line block ×4, first 2 shown]
	v_add_f32_e32 v72, v73, v72
	v_fmamk_f32 v73, v125, 0x3eb8f4ab, v212
	v_mul_f32_e32 v226, 0x3f6eb680, v139
	v_mul_f32_e32 v227, 0xbf59a7d5, v149
	v_fmamk_f32 v75, v123, 0xbf763a35, v225
	v_mul_f32_e32 v228, 0x3dbcf732, v144
	v_add_f32_e32 v72, v73, v72
	v_fmamk_f32 v73, v126, 0x3e3c28d5, v213
	v_mul_f32_e32 v229, 0x3f3d2fb0, v147
	v_mul_f32_e32 v230, 0xbf4c4adb, v86
	;; [unrolled: 1-line block ×4, first 2 shown]
	v_add_f32_e32 v72, v73, v72
	v_fmamk_f32 v73, v94, 0xbf59a7d5, v214
	v_mul_f32_e32 v233, 0xbeb8f4ab, v85
	v_fmamk_f32 v76, v88, 0xbe8c1d8e, v231
	v_mul_f32_e32 v234, 0xbf06c442, v84
	v_mul_f32_e32 v235, 0x3f7ee86f, v148
	v_add_f32_e32 v73, v101, v73
	v_mul_f32_e32 v236, 0xbf2c7751, v191
	v_mul_f32_e32 v237, 0xbe3c28d5, v143
	;; [unrolled: 1-line block ×4, first 2 shown]
	v_add_f32_e32 v73, v74, v73
	v_fmamk_f32 v74, v119, 0xbf2c7751, v216
	v_mul_f32_e32 v240, 0xbe8c1d8e, v136
	v_mul_f32_e32 v241, 0xbf59a7d5, v141
	v_mul_f32_e32 v242, 0x3f3d2fb0, v139
	v_mul_f32_e32 v243, 0x3ee437d1, v149
	v_add_f32_e32 v72, v74, v72
	v_fmamk_f32 v74, v98, 0x3dbcf732, v217
	v_fmamk_f32 v77, v123, 0xbf06c442, v241
	v_mul_f32_e32 v244, 0xbf7ba420, v144
	v_mul_f32_e32 v245, 0x3dbcf732, v147
	;; [unrolled: 1-line block ×3, first 2 shown]
	v_add_f32_e32 v73, v74, v73
	v_fmamk_f32 v74, v93, 0xbf1a4643, v218
	v_mul_f32_e32 v247, 0x3f06c442, v87
	v_mul_f32_e32 v248, 0x3f6eb680, v135
	;; [unrolled: 1-line block ×4, first 2 shown]
	v_add_f32_e32 v73, v74, v73
	v_fmamk_f32 v74, v97, 0x3f6eb680, v219
	v_fmamk_f32 v78, v88, 0xbf59a7d5, v247
	v_mul_f32_e32 v251, 0xbe3c28d5, v148
	v_mul_f32_e32 v252, 0x3f7ee86f, v191
	;; [unrolled: 1-line block ×3, first 2 shown]
	v_add_f32_e32 v73, v74, v73
	v_fmamk_f32 v74, v96, 0xbf7ba420, v220
	v_mul_f32_e32 v188, 0xbf1a4643, v142
	v_mul_f32_e32 v189, 0xbf4c4adb, v187
	v_mul_f32_e32 v175, 0x3dbcf732, v136
	v_mul_f32_e32 v176, 0xbf7ba420, v141
	v_add_f32_e32 v73, v74, v73
	v_fmamk_f32 v74, v122, 0x3f3d2fb0, v221
	v_mul_f32_e32 v178, 0xbe8c1d8e, v139
	v_mul_f32_e32 v179, 0x3f6eb680, v149
	v_fmamk_f32 v79, v123, 0x3e3c28d5, v176
	v_mul_f32_e32 v180, 0x3ee437d1, v144
	v_add_f32_e32 v74, v74, v73
	v_fmamk_f32 v73, v120, 0x3f763a35, v222
	v_mul_f32_e32 v177, 0xbf59a7d5, v147
	v_mul_f32_e32 v182, 0xbf7ee86f, v86
	;; [unrolled: 1-line block ×4, first 2 shown]
	v_add_f32_e32 v73, v73, v72
	v_fmamk_f32 v72, v121, 0xbe8c1d8e, v223
	v_mul_f32_e32 v186, 0x3f763a35, v85
	v_fmamk_f32 v80, v88, 0xbf7ba420, v184
	v_mul_f32_e32 v185, 0x3eb8f4ab, v84
	v_mul_f32_e32 v183, 0xbf65296c, v148
	v_add_f32_e32 v72, v72, v74
	v_fmamk_f32 v74, v127, 0x3f4c4adb, v224
	v_mul_f32_e32 v174, 0xbf06c442, v191
	v_mul_f32_e32 v173, 0x3f4c4adb, v143
	;; [unrolled: 1-line block ×4, first 2 shown]
	v_add_f32_e32 v74, v102, v74
	v_mul_f32_e32 v159, 0x3ee437d1, v136
	v_mul_f32_e32 v160, 0xbf1a4643, v141
	;; [unrolled: 1-line block ×4, first 2 shown]
	v_add_f32_e32 v74, v75, v74
	v_fmamk_f32 v75, v124, 0x3eb8f4ab, v226
	v_fmamk_f32 v81, v123, 0x3f4c4adb, v160
	v_mul_f32_e32 v157, 0x3f3d2fb0, v144
	v_mul_f32_e32 v156, 0x3f6eb680, v147
	;; [unrolled: 1-line block ×3, first 2 shown]
	v_add_f32_e32 v74, v75, v74
	v_fmamk_f32 v75, v92, 0x3f06c442, v227
	v_mul_f32_e32 v167, 0xbf4c4adb, v87
	v_mul_f32_e32 v162, 0x3dbcf732, v135
	;; [unrolled: 1-line block ×4, first 2 shown]
	v_add_f32_e32 v74, v75, v74
	v_fmamk_f32 v75, v125, 0xbf7ee86f, v228
	v_fmamk_f32 v82, v88, 0xbf1a4643, v167
	v_mul_f32_e32 v168, 0x3f2c7751, v148
	v_mul_f32_e32 v165, 0xbeb8f4ab, v191
	;; [unrolled: 1-line block ×3, first 2 shown]
	v_add_f32_e32 v74, v75, v74
	v_fmamk_f32 v75, v126, 0x3f2c7751, v229
	v_mul_f32_e32 v150, 0xbf59a7d5, v142
	v_mul_f32_e32 v155, 0xbf06c442, v187
	;; [unrolled: 1-line block ×4, first 2 shown]
	v_add_f32_e32 v74, v75, v74
	v_fmamk_f32 v75, v94, 0xbf1a4643, v230
	v_mul_f32_e32 v130, 0xbf1a4643, v139
	v_mul_f32_e32 v132, 0xbf7ba420, v149
	v_fmamk_f32 v83, v123, 0x3f7ee86f, v128
	v_mul_f32_e32 v131, 0xbf59a7d5, v144
	v_add_f32_e32 v75, v101, v75
	v_mul_f32_e32 v129, 0xbe8c1d8e, v147
	v_mul_f32_e32 v151, 0xbf2c7751, v86
	;; [unrolled: 1-line block ×4, first 2 shown]
	v_add_f32_e32 v75, v76, v75
	v_fmamk_f32 v76, v119, 0x3e3c28d5, v232
	v_mul_f32_e32 v140, 0xbf4c4adb, v85
	v_fmamk_f32 v89, v88, 0x3dbcf732, v138
	v_mul_f32_e32 v137, 0xbe3c28d5, v84
	v_mul_f32_e32 v134, 0x3f06c442, v148
	v_add_f32_e32 v74, v76, v74
	v_fmamk_f32 v76, v98, 0x3f6eb680, v233
	v_mul_f32_e32 v99, 0x3f763a35, v191
	v_mul_f32_e32 v95, 0x3f65296c, v143
	;; [unrolled: 1-line block ×4, first 2 shown]
	v_add_f32_e32 v75, v76, v75
	v_fmamk_f32 v76, v93, 0xbf59a7d5, v234
	v_mul_f32_e32 v146, 0x3f3d2fb0, v141
	v_mul_f32_e32 v166, 0xbeb8f4ab, v86
	v_fmamk_f32 v136, v127, 0x3eb8f4ab, v154
	v_mul_f32_e32 v152, 0xbf2c7751, v87
	v_add_f32_e32 v75, v76, v75
	v_fmamk_f32 v76, v97, 0x3dbcf732, v235
	v_fmamk_f32 v141, v123, 0x3f2c7751, v146
	v_add_f32_e32 v136, v102, v136
	v_fmamk_f32 v86, v94, 0x3f6eb680, v166
	v_fmamk_f32 v87, v88, 0x3f3d2fb0, v152
	v_add_f32_e32 v75, v76, v75
	v_fmamk_f32 v76, v96, 0x3f3d2fb0, v236
	v_add_f32_e32 v136, v141, v136
	v_mul_f32_e32 v141, 0x3dbcf732, v149
	v_add_f32_e32 v86, v101, v86
	v_mul_f32_e32 v153, 0xbf65296c, v85
	v_add_f32_e32 v75, v76, v75
	v_fmamk_f32 v76, v122, 0xbf7ba420, v237
	v_mul_f32_e32 v149, 0xbf7ee86f, v84
	v_add_f32_e32 v86, v87, v86
	v_fmamk_f32 v85, v98, 0x3ee437d1, v153
	;; [unrolled: 3-line block ×3, first 2 shown]
	v_fmamk_f32 v84, v93, 0x3dbcf732, v149
	v_add_f32_e32 v85, v85, v86
	v_mul_f32_e32 v148, 0xbf763a35, v148
	v_fmamk_f32 v87, v119, 0x3f06c442, v135
	v_add_f32_e32 v75, v75, v74
	v_fmamk_f32 v74, v121, 0x3ee437d1, v239
	v_add_f32_e32 v84, v84, v85
	v_fmamk_f32 v85, v97, 0xbe8c1d8e, v148
	v_fmac_f32_e32 v192, 0xbe3c28d5, v127
	v_fmac_f32_e32 v193, 0x3eb8f4ab, v123
	v_add_f32_e32 v74, v74, v76
	v_fmamk_f32 v76, v127, 0x3f763a35, v240
	v_add_f32_e32 v84, v85, v84
	v_fmac_f32_e32 v194, 0xbf06c442, v124
	v_fmac_f32_e32 v196, 0x3f2c7751, v92
	;; [unrolled: 1-line block ×3, first 2 shown]
	v_add_f32_e32 v76, v102, v76
	v_fmac_f32_e32 v200, 0x3f65296c, v126
	v_fmac_f32_e32 v204, 0xbf763a35, v119
	v_fmac_f32_e32 v206, 0x3f7ee86f, v120
	v_fmac_f32_e32 v208, 0xbf06c442, v127
	v_add_f32_e32 v76, v77, v76
	v_fmamk_f32 v77, v124, 0xbf2c7751, v242
	v_fmac_f32_e32 v209, 0x3f65296c, v123
	v_fmac_f32_e32 v210, 0xbf7ee86f, v124
	v_fmac_f32_e32 v211, 0x3f4c4adb, v92
	v_fmac_f32_e32 v212, 0xbeb8f4ab, v125
	v_add_f32_e32 v76, v77, v76
	v_fmamk_f32 v77, v92, 0x3f65296c, v243
	;; [unrolled: 6-line block ×5, first 2 shown]
	v_fmac_f32_e32 v154, 0xbeb8f4ab, v127
	v_fmac_f32_e32 v128, 0xbf7ee86f, v123
	;; [unrolled: 1-line block ×4, first 2 shown]
	v_add_f32_e32 v77, v101, v77
	v_fmac_f32_e32 v241, 0x3f06c442, v123
	v_fmac_f32_e32 v146, 0xbf2c7751, v123
	v_fma_f32 v123, 0xbf7ba420, v93, -v137
	v_fmac_f32_e32 v242, 0x3f2c7751, v124
	v_add_f32_e32 v77, v78, v77
	v_fmamk_f32 v78, v119, 0x3eb8f4ab, v248
	v_fmac_f32_e32 v243, 0xbf65296c, v92
	v_fmac_f32_e32 v244, 0xbe3c28d5, v125
	;; [unrolled: 1-line block ×4, first 2 shown]
	v_add_f32_e32 v76, v78, v76
	v_fmamk_f32 v78, v98, 0x3f3d2fb0, v249
	v_fmac_f32_e32 v135, 0xbf06c442, v119
	v_add_f32_e32 v77, v78, v77
	v_fmamk_f32 v78, v93, 0x3ee437d1, v250
	v_add_f32_e32 v77, v78, v77
	v_fmamk_f32 v78, v97, 0xbf7ba420, v251
	v_add_f32_e32 v77, v78, v77
	v_fmamk_f32 v78, v96, 0x3dbcf732, v252
	v_add_f32_e32 v77, v78, v77
	v_fmamk_f32 v78, v122, 0x3f6eb680, v190
	v_fma_f32 v190, 0x3f6eb680, v122, -v190
	v_add_f32_e32 v78, v78, v77
	v_fmamk_f32 v77, v120, 0x3f4c4adb, v188
	v_fmac_f32_e32 v188, 0xbf4c4adb, v120
	v_add_f32_e32 v77, v77, v76
	v_fmamk_f32 v76, v121, 0xbf1a4643, v189
	v_fma_f32 v189, 0xbf1a4643, v121, -v189
	v_add_f32_e32 v76, v76, v78
	v_fmamk_f32 v78, v127, 0x3f7ee86f, v175
	v_fmac_f32_e32 v175, 0xbf7ee86f, v127
	v_add_f32_e32 v78, v102, v78
	v_add_f32_e32 v175, v102, v175
	;; [unrolled: 1-line block ×3, first 2 shown]
	v_fmamk_f32 v79, v124, 0xbf763a35, v178
	v_add_f32_e32 v175, v176, v175
	v_fmac_f32_e32 v178, 0x3f763a35, v124
	v_fma_f32 v176, 0x3dbcf732, v94, -v182
	v_add_f32_e32 v78, v79, v78
	v_fmamk_f32 v79, v92, 0xbeb8f4ab, v179
	v_add_f32_e32 v175, v178, v175
	v_fmac_f32_e32 v179, 0x3eb8f4ab, v92
	v_add_f32_e32 v176, v101, v176
	v_fma_f32 v178, 0xbf7ba420, v88, -v184
	v_add_f32_e32 v78, v79, v78
	v_fmamk_f32 v79, v125, 0x3f65296c, v180
	v_add_f32_e32 v175, v179, v175
	v_fmac_f32_e32 v180, 0xbf65296c, v125
	v_add_f32_e32 v176, v178, v176
	v_add_f32_e32 v78, v79, v78
	v_fmamk_f32 v79, v126, 0x3f06c442, v177
	v_add_f32_e32 v175, v180, v175
	v_fmac_f32_e32 v177, 0xbf06c442, v126
	v_add_f32_e32 v78, v79, v78
	v_fmamk_f32 v79, v94, 0x3dbcf732, v182
	v_add_f32_e32 v175, v177, v175
	v_fma_f32 v177, 0xbe8c1d8e, v98, -v186
	v_add_f32_e32 v79, v101, v79
	v_add_f32_e32 v176, v177, v176
	v_fma_f32 v177, 0x3f6eb680, v93, -v185
	v_add_f32_e32 v79, v80, v79
	v_fmamk_f32 v80, v119, 0xbf4c4adb, v181
	v_fmac_f32_e32 v181, 0x3f4c4adb, v119
	v_add_f32_e32 v176, v177, v176
	v_fma_f32 v177, 0x3ee437d1, v97, -v183
	v_add_f32_e32 v78, v80, v78
	v_fmamk_f32 v80, v98, 0xbe8c1d8e, v186
	v_add_f32_e32 v175, v181, v175
	v_add_f32_e32 v176, v177, v176
	;; [unrolled: 1-line block ×3, first 2 shown]
	v_fmamk_f32 v80, v93, 0x3f6eb680, v185
	v_add_f32_e32 v79, v80, v79
	v_fmamk_f32 v80, v97, 0x3ee437d1, v183
	v_add_f32_e32 v79, v80, v79
	v_fmamk_f32 v80, v96, 0xbf59a7d5, v174
	v_fma_f32 v174, 0xbf59a7d5, v96, -v174
	v_add_f32_e32 v79, v80, v79
	v_fmamk_f32 v80, v122, 0xbf1a4643, v173
	v_add_f32_e32 v174, v174, v176
	v_fma_f32 v173, 0xbf1a4643, v122, -v173
	v_add_f32_e32 v80, v80, v79
	v_fmamk_f32 v79, v120, 0xbf2c7751, v171
	v_add_f32_e32 v173, v173, v174
	v_fmac_f32_e32 v171, 0x3f2c7751, v120
	v_fma_f32 v174, 0x3f3d2fb0, v121, -v172
	v_add_f32_e32 v79, v79, v78
	v_fmamk_f32 v78, v121, 0x3f3d2fb0, v172
	v_add_f32_e32 v172, v171, v175
	v_add_f32_e32 v171, v174, v173
	;; [unrolled: 1-line block ×3, first 2 shown]
	v_fmamk_f32 v80, v127, 0x3f65296c, v159
	v_fmac_f32_e32 v159, 0xbf65296c, v127
	v_add_f32_e32 v80, v102, v80
	v_add_f32_e32 v159, v102, v159
	;; [unrolled: 1-line block ×3, first 2 shown]
	v_fmamk_f32 v81, v124, 0xbe3c28d5, v161
	v_add_f32_e32 v159, v160, v159
	v_fma_f32 v160, 0x3ee437d1, v94, -v164
	v_fmac_f32_e32 v161, 0x3e3c28d5, v124
	v_add_f32_e32 v80, v81, v80
	v_fmamk_f32 v81, v92, 0xbf763a35, v158
	v_add_f32_e32 v160, v101, v160
	v_add_f32_e32 v159, v161, v159
	v_fma_f32 v161, 0xbf1a4643, v88, -v167
	v_fmac_f32_e32 v158, 0x3f763a35, v92
	v_add_f32_e32 v80, v81, v80
	v_fmamk_f32 v81, v125, 0xbf2c7751, v157
	v_fmac_f32_e32 v157, 0x3f2c7751, v125
	v_add_f32_e32 v160, v161, v160
	v_add_f32_e32 v158, v158, v159
	v_fma_f32 v159, 0xbf7ba420, v98, -v170
	v_add_f32_e32 v80, v81, v80
	v_fmamk_f32 v81, v126, 0x3eb8f4ab, v156
	v_fmac_f32_e32 v156, 0xbeb8f4ab, v126
	v_add_f32_e32 v157, v157, v158
	v_add_f32_e32 v159, v159, v160
	v_fma_f32 v158, 0xbe8c1d8e, v93, -v169
	v_add_f32_e32 v80, v81, v80
	v_fmamk_f32 v81, v94, 0x3ee437d1, v164
	v_add_f32_e32 v156, v156, v157
	v_fma_f32 v157, 0x3f3d2fb0, v97, -v168
	v_add_f32_e32 v158, v158, v159
	v_add_f32_e32 v81, v101, v81
	v_add_f32_e32 v157, v157, v158
	v_fma_f32 v158, 0x3f6eb680, v96, -v165
	v_add_f32_e32 v81, v82, v81
	v_fmamk_f32 v82, v119, 0x3f7ee86f, v162
	v_fmac_f32_e32 v162, 0xbf7ee86f, v119
	v_add_f32_e32 v157, v158, v157
	v_fma_f32 v158, 0x3dbcf732, v122, -v163
	v_add_f32_e32 v80, v82, v80
	v_fmamk_f32 v82, v98, 0xbf7ba420, v170
	v_add_f32_e32 v156, v162, v156
	v_add_f32_e32 v157, v158, v157
	;; [unrolled: 1-line block ×3, first 2 shown]
	v_fmamk_f32 v82, v93, 0xbe8c1d8e, v169
	v_add_f32_e32 v81, v82, v81
	v_fmamk_f32 v82, v97, 0x3f3d2fb0, v168
	v_add_f32_e32 v81, v82, v81
	;; [unrolled: 2-line block ×4, first 2 shown]
	v_fmamk_f32 v81, v120, 0x3f06c442, v150
	v_fmac_f32_e32 v150, 0xbf06c442, v120
	v_add_f32_e32 v81, v81, v80
	v_fmamk_f32 v80, v121, 0xbf59a7d5, v155
	v_fma_f32 v155, 0xbf59a7d5, v121, -v155
	v_add_f32_e32 v156, v150, v156
	v_add_f32_e32 v80, v80, v82
	v_fmamk_f32 v82, v127, 0x3f2c7751, v133
	v_fmac_f32_e32 v133, 0xbf2c7751, v127
	v_fma_f32 v127, 0x3f3d2fb0, v94, -v151
	v_add_f32_e32 v155, v155, v157
	v_add_f32_e32 v82, v102, v82
	;; [unrolled: 1-line block ×5, first 2 shown]
	v_fmamk_f32 v83, v124, 0x3f4c4adb, v130
	v_fmac_f32_e32 v130, 0xbf4c4adb, v124
	v_add_f32_e32 v82, v83, v82
	v_fmamk_f32 v83, v92, 0x3e3c28d5, v132
	v_fmac_f32_e32 v132, 0xbe3c28d5, v92
	v_add_f32_e32 v82, v83, v82
	;; [unrolled: 3-line block ×4, first 2 shown]
	v_fmamk_f32 v83, v94, 0x3f3d2fb0, v151
	v_add_f32_e32 v83, v101, v83
	v_add_f32_e32 v83, v89, v83
	v_fmamk_f32 v89, v119, 0xbf65296c, v91
	v_fmac_f32_e32 v91, 0x3f65296c, v119
	v_add_f32_e32 v82, v89, v82
	v_fmamk_f32 v89, v98, 0xbf1a4643, v140
	v_add_f32_e32 v83, v89, v83
	v_fmamk_f32 v89, v93, 0xbf7ba420, v137
	;; [unrolled: 2-line block ×5, first 2 shown]
	v_fma_f32 v95, 0x3ee437d1, v122, -v95
	v_add_f32_e32 v145, v89, v83
	v_mul_f32_e32 v89, 0x3f6eb680, v142
	v_mul_f32_e32 v142, 0xbf7ba420, v142
	v_fmamk_f32 v83, v120, 0xbeb8f4ab, v89
	v_fmac_f32_e32 v89, 0x3eb8f4ab, v120
	v_add_f32_e32 v83, v83, v82
	v_fmamk_f32 v82, v121, 0x3f6eb680, v90
	v_fma_f32 v90, 0x3f6eb680, v121, -v90
	v_add_f32_e32 v82, v82, v145
	v_mul_f32_e32 v145, 0x3ee437d1, v139
	v_fmamk_f32 v139, v124, 0x3f65296c, v145
	v_fmac_f32_e32 v145, 0xbf65296c, v124
	v_add_f32_e32 v136, v139, v136
	v_fmamk_f32 v139, v92, 0x3f7ee86f, v141
	v_fmac_f32_e32 v141, 0xbf7ee86f, v92
	v_fma_f32 v92, 0xbe8c1d8e, v96, -v99
	v_add_f32_e32 v136, v139, v136
	v_mul_f32_e32 v139, 0xbe8c1d8e, v144
	v_fmamk_f32 v144, v125, 0x3f763a35, v139
	v_fmac_f32_e32 v139, 0xbf763a35, v125
	v_add_f32_e32 v144, v144, v136
	v_mul_f32_e32 v136, 0xbf1a4643, v147
	v_fmamk_f32 v147, v126, 0x3f4c4adb, v136
	v_fmac_f32_e32 v136, 0xbf4c4adb, v126
	v_add_f32_e32 v144, v147, v144
	v_mul_f32_e32 v147, 0xbf4c4adb, v191
	v_fma_f32 v191, 0x3dbcf732, v121, -v207
	v_add_f32_e32 v87, v87, v144
	v_fmamk_f32 v85, v96, 0xbf1a4643, v147
	v_mul_f32_e32 v144, 0xbf06c442, v143
	v_mul_f32_e32 v143, 0xbe3c28d5, v187
	v_fma_f32 v187, 0x3f6eb680, v88, -v197
	v_add_f32_e32 v84, v85, v84
	v_fmamk_f32 v85, v122, 0xbf59a7d5, v144
	v_fmamk_f32 v86, v121, 0xbf7ba420, v143
	v_add_f32_e32 v84, v85, v84
	v_fmamk_f32 v85, v120, 0x3e3c28d5, v142
	v_fmac_f32_e32 v142, 0xbe3c28d5, v120
	v_add_f32_e32 v84, v86, v84
	v_add_f32_e32 v85, v85, v87
	v_fma_f32 v87, 0xbf7ba420, v94, -v195
	v_add_f32_e32 v86, v102, v192
	v_fma_f32 v192, 0x3ee437d1, v88, -v215
	v_fma_f32 v195, 0x3ee437d1, v121, -v239
	v_add_f32_e32 v87, v101, v87
	v_add_f32_e32 v86, v193, v86
	v_fma_f32 v193, 0xbe8c1d8e, v121, -v223
	v_add_f32_e32 v87, v187, v87
	v_fma_f32 v187, 0xbf59a7d5, v98, -v199
	;; [unrolled: 2-line block ×6, first 2 shown]
	v_add_f32_e32 v86, v198, v86
	v_add_f32_e32 v87, v187, v87
	v_fma_f32 v187, 0x3ee437d1, v96, -v203
	v_add_f32_e32 v86, v200, v86
	v_add_f32_e32 v87, v187, v87
	v_fma_f32 v187, 0xbe8c1d8e, v122, -v205
	v_add_f32_e32 v86, v204, v86
	v_add_f32_e32 v187, v187, v87
	v_add_f32_e32 v87, v206, v86
	v_add_f32_e32 v86, v191, v187
	v_fma_f32 v191, 0xbf59a7d5, v94, -v214
	v_add_f32_e32 v187, v102, v208
	v_add_f32_e32 v191, v101, v191
	;; [unrolled: 5-line block ×3, first 2 shown]
	v_fma_f32 v192, 0xbf1a4643, v93, -v218
	v_add_f32_e32 v187, v211, v187
	v_add_f32_e32 v191, v192, v191
	v_fma_f32 v192, 0x3f6eb680, v97, -v219
	v_add_f32_e32 v187, v212, v187
	v_add_f32_e32 v191, v192, v191
	;; [unrolled: 3-line block ×4, first 2 shown]
	v_add_f32_e32 v192, v222, v187
	v_add_f32_e32 v187, v102, v224
	;; [unrolled: 1-line block ×3, first 2 shown]
	v_fma_f32 v193, 0xbf1a4643, v94, -v230
	v_add_f32_e32 v187, v225, v187
	v_add_f32_e32 v193, v101, v193
	;; [unrolled: 1-line block ×4, first 2 shown]
	v_fma_f32 v194, 0x3f6eb680, v98, -v233
	v_add_f32_e32 v187, v227, v187
	v_add_f32_e32 v193, v194, v193
	v_fma_f32 v194, 0xbf59a7d5, v93, -v234
	v_add_f32_e32 v187, v228, v187
	v_add_f32_e32 v193, v194, v193
	;; [unrolled: 3-line block ×5, first 2 shown]
	v_add_f32_e32 v187, v102, v240
	v_add_f32_e32 v102, v102, v154
	;; [unrolled: 1-line block ×3, first 2 shown]
	v_fma_f32 v195, 0xbe8c1d8e, v94, -v246
	v_fma_f32 v94, 0x3f6eb680, v94, -v166
	v_add_f32_e32 v187, v241, v187
	v_add_f32_e32 v102, v146, v102
	;; [unrolled: 1-line block ×5, first 2 shown]
	v_fma_f32 v128, 0x3dbcf732, v88, -v138
	v_fma_f32 v88, 0x3f3d2fb0, v88, -v152
	v_add_f32_e32 v195, v196, v195
	v_fma_f32 v196, 0x3f3d2fb0, v98, -v249
	v_add_f32_e32 v187, v242, v187
	v_add_f32_e32 v127, v128, v127
	v_fma_f32 v128, 0xbf1a4643, v98, -v140
	v_add_f32_e32 v88, v88, v94
	v_fma_f32 v94, 0x3ee437d1, v98, -v153
	v_fma_f32 v98, 0xbf59a7d5, v97, -v134
	v_add_f32_e32 v195, v196, v195
	v_add_f32_e32 v127, v128, v127
	v_fma_f32 v196, 0x3ee437d1, v93, -v250
	v_add_f32_e32 v101, v130, v101
	v_add_f32_e32 v102, v145, v102
	;; [unrolled: 1-line block ×4, first 2 shown]
	v_fma_f32 v93, 0x3dbcf732, v93, -v149
	v_add_f32_e32 v187, v243, v187
	v_add_f32_e32 v195, v196, v195
	v_fma_f32 v196, 0xbf7ba420, v97, -v251
	v_add_f32_e32 v98, v98, v123
	v_add_f32_e32 v101, v132, v101
	;; [unrolled: 1-line block ×4, first 2 shown]
	v_fma_f32 v93, 0xbe8c1d8e, v97, -v148
	v_add_f32_e32 v92, v92, v98
	v_add_f32_e32 v187, v244, v187
	;; [unrolled: 1-line block ×3, first 2 shown]
	v_fma_f32 v196, 0x3dbcf732, v96, -v252
	v_add_f32_e32 v101, v131, v101
	v_add_f32_e32 v94, v139, v94
	v_add_f32_e32 v88, v93, v88
	v_fma_f32 v93, 0xbf1a4643, v96, -v147
	v_add_f32_e32 v92, v95, v92
	v_mul_lo_u16 v95, v104, 17
	v_add_f32_e32 v187, v245, v187
	v_add_f32_e32 v195, v196, v195
	;; [unrolled: 1-line block ×5, first 2 shown]
	v_fma_f32 v93, 0xbf59a7d5, v122, -v144
	v_and_b32_e32 v95, 0xffff, v95
	v_add_f32_e32 v187, v248, v187
	v_add_f32_e32 v190, v190, v195
	;; [unrolled: 1-line block ×5, first 2 shown]
	v_fma_f32 v96, 0xbf7ba420, v121, -v143
	v_lshl_add_u32 v95, v95, 3, v105
	v_add_f32_e32 v188, v188, v187
	v_add_f32_e32 v187, v189, v190
	;; [unrolled: 1-line block ×6, first 2 shown]
	ds_write2_b64 v95, v[0:1], v[84:85] offset1:1
	ds_write2_b64 v95, v[82:83], v[80:81] offset0:2 offset1:3
	ds_write2_b64 v95, v[78:79], v[76:77] offset0:4 offset1:5
	;; [unrolled: 1-line block ×7, first 2 shown]
	ds_write_b64 v95, v[90:91] offset:128
.LBB0_13:
	s_or_b32 exec_lo, exec_lo, s0
	v_add_nc_u32_e32 v0, 0x800, v106
	v_add_nc_u32_e32 v1, 0x1800, v106
	;; [unrolled: 1-line block ×3, first 2 shown]
	s_waitcnt lgkmcnt(0)
	s_barrier
	buffer_gl0_inv
	ds_read2_b64 v[73:76], v0 offset0:84 offset1:169
	ds_read2_b64 v[77:80], v1 offset0:82 offset1:167
	;; [unrolled: 1-line block ×3, first 2 shown]
	v_add_nc_u32_e32 v3, 0x1c00, v106
	v_add_nc_u32_e32 v72, 0x1000, v106
	ds_read2_b64 v[85:88], v106 offset1:85
	ds_read2_b64 v[89:92], v106 offset0:170 offset1:255
	ds_read_b64 v[97:98], v106 offset:9520
	ds_read2_b64 v[93:96], v3 offset0:124 offset1:209
	ds_read2_b64 v[119:122], v72 offset0:168 offset1:253
	s_waitcnt lgkmcnt(0)
	s_barrier
	buffer_gl0_inv
	v_mul_f32_e32 v99, v17, v76
	v_mul_f32_e32 v17, v17, v75
	v_mul_f32_e32 v101, v19, v78
	v_mul_f32_e32 v19, v19, v77
	v_mul_f32_e32 v105, v23, v80
	v_mul_f32_e32 v102, v21, v82
	v_mul_f32_e32 v23, v23, v79
	v_fmac_f32_e32 v99, v16, v75
	v_fma_f32 v16, v16, v76, -v17
	v_fmac_f32_e32 v101, v18, v77
	v_fma_f32 v17, v18, v78, -v19
	v_fmac_f32_e32 v105, v22, v79
	v_mul_f32_e32 v77, v5, v122
	v_mul_f32_e32 v5, v5, v121
	;; [unrolled: 1-line block ×5, first 2 shown]
	v_fmac_f32_e32 v102, v20, v81
	v_fma_f32 v19, v22, v80, -v23
	v_mul_f32_e32 v22, v9, v120
	v_mul_f32_e32 v9, v9, v119
	;; [unrolled: 1-line block ×4, first 2 shown]
	v_fmac_f32_e32 v77, v4, v121
	v_fma_f32 v80, v4, v122, -v5
	v_add_f32_e32 v4, v99, v101
	v_add_f32_e32 v5, v85, v99
	v_fma_f32 v81, v6, v98, -v7
	v_add_f32_e32 v7, v16, v17
	v_mul_f32_e32 v123, v13, v84
	v_fma_f32 v18, v20, v82, -v21
	v_mul_f32_e32 v20, v15, v94
	v_mul_f32_e32 v15, v15, v93
	v_fma_f32 v76, v8, v120, -v9
	v_fmac_f32_e32 v75, v10, v95
	v_fma_f32 v78, v10, v96, -v11
	v_fmac_f32_e32 v79, v6, v97
	v_fma_f32 v4, -0.5, v4, v85
	v_sub_f32_e32 v9, v16, v17
	v_add_f32_e32 v6, v5, v101
	v_add_f32_e32 v10, v86, v16
	v_fma_f32 v5, -0.5, v7, v86
	v_sub_f32_e32 v11, v99, v101
	v_mul_f32_e32 v13, v13, v83
	v_fmac_f32_e32 v123, v12, v83
	v_fmac_f32_e32 v20, v14, v93
	v_fma_f32 v23, v14, v94, -v15
	v_fmac_f32_e32 v22, v8, v119
	v_fmamk_f32 v8, v9, 0xbf5db3d7, v4
	v_fmac_f32_e32 v4, 0x3f5db3d7, v9
	v_add_f32_e32 v7, v10, v17
	v_add_f32_e32 v10, v102, v105
	v_fmamk_f32 v9, v11, 0x3f5db3d7, v5
	v_fmac_f32_e32 v5, 0xbf5db3d7, v11
	v_add_f32_e32 v11, v18, v19
	v_add_f32_e32 v14, v88, v18
	v_fma_f32 v21, v12, v84, -v13
	v_add_f32_e32 v12, v87, v102
	v_fma_f32 v87, -0.5, v10, v87
	v_sub_f32_e32 v13, v18, v19
	v_fmac_f32_e32 v88, -0.5, v11
	v_sub_f32_e32 v15, v102, v105
	v_add_f32_e32 v11, v14, v19
	v_add_f32_e32 v14, v123, v20
	;; [unrolled: 1-line block ×3, first 2 shown]
	v_fmamk_f32 v12, v13, 0xbf5db3d7, v87
	v_fmac_f32_e32 v87, 0x3f5db3d7, v13
	v_fmamk_f32 v13, v15, 0x3f5db3d7, v88
	v_add_f32_e32 v16, v89, v123
	v_fmac_f32_e32 v88, 0xbf5db3d7, v15
	v_add_f32_e32 v15, v21, v23
	v_fma_f32 v14, -0.5, v14, v89
	v_sub_f32_e32 v17, v21, v23
	v_add_f32_e32 v19, v90, v21
	v_add_f32_e32 v16, v16, v20
	v_fma_f32 v15, -0.5, v15, v90
	v_sub_f32_e32 v20, v123, v20
	v_fmamk_f32 v18, v17, 0xbf5db3d7, v14
	v_fmac_f32_e32 v14, 0x3f5db3d7, v17
	v_add_f32_e32 v17, v19, v23
	v_add_f32_e32 v21, v22, v75
	;; [unrolled: 1-line block ×4, first 2 shown]
	v_fmamk_f32 v19, v20, 0x3f5db3d7, v15
	v_fmac_f32_e32 v15, 0xbf5db3d7, v20
	v_fma_f32 v91, -0.5, v21, v91
	v_sub_f32_e32 v21, v76, v78
	v_add_f32_e32 v20, v23, v75
	v_add_f32_e32 v23, v92, v76
	v_fmac_f32_e32 v92, -0.5, v82
	v_sub_f32_e32 v75, v22, v75
	v_fmamk_f32 v22, v21, 0xbf5db3d7, v91
	v_fmac_f32_e32 v91, 0x3f5db3d7, v21
	v_add_f32_e32 v21, v23, v78
	v_add_f32_e32 v76, v77, v79
	v_fmamk_f32 v23, v75, 0x3f5db3d7, v92
	v_fmac_f32_e32 v92, 0xbf5db3d7, v75
	v_add_f32_e32 v75, v80, v81
	v_add_f32_e32 v78, v73, v77
	v_fma_f32 v73, -0.5, v76, v73
	v_sub_f32_e32 v76, v80, v81
	v_add_f32_e32 v80, v74, v80
	v_fmac_f32_e32 v74, -0.5, v75
	v_sub_f32_e32 v82, v77, v79
	v_add_f32_e32 v75, v78, v79
	v_fmamk_f32 v77, v76, 0xbf5db3d7, v73
	v_fmac_f32_e32 v73, 0x3f5db3d7, v76
	v_add_f32_e32 v76, v80, v81
	v_fmamk_f32 v78, v82, 0x3f5db3d7, v74
	v_fmac_f32_e32 v74, 0xbf5db3d7, v82
	ds_write2_b64 v114, v[6:7], v[8:9] offset1:17
	ds_write_b64 v114, v[4:5] offset:272
	ds_write2_b64 v115, v[10:11], v[12:13] offset1:17
	ds_write_b64 v115, v[87:88] offset:272
	;; [unrolled: 2-line block ×5, first 2 shown]
	s_waitcnt lgkmcnt(0)
	s_barrier
	buffer_gl0_inv
	ds_read2_b64 v[4:7], v106 offset0:170 offset1:255
	ds_read2_b64 v[8:11], v2 offset0:126 offset1:211
	;; [unrolled: 1-line block ×5, first 2 shown]
	ds_read2_b64 v[73:76], v106 offset1:85
	ds_read2_b64 v[77:80], v1 offset0:82 offset1:167
	ds_read_b64 v[81:82], v106 offset:9520
	s_waitcnt lgkmcnt(0)
	s_barrier
	buffer_gl0_inv
	v_mul_f32_e32 v83, v45, v7
	v_mul_f32_e32 v45, v45, v6
	;; [unrolled: 1-line block ×5, first 2 shown]
	v_fmac_f32_e32 v83, v44, v6
	v_fma_f32 v44, v44, v7, -v45
	v_fmac_f32_e32 v84, v46, v8
	v_fma_f32 v45, v46, v9, -v47
	v_mul_f32_e32 v6, v41, v14
	v_mul_f32_e32 v9, v43, v17
	;; [unrolled: 1-line block ×5, first 2 shown]
	v_fma_f32 v37, v40, v15, -v6
	v_fmac_f32_e32 v9, v42, v16
	v_fma_f32 v16, v42, v17, -v7
	v_fmac_f32_e32 v41, v36, v20
	v_fma_f32 v36, v36, v21, -v8
	v_mul_f32_e32 v21, v39, v11
	v_mul_f32_e32 v6, v39, v10
	;; [unrolled: 1-line block ×5, first 2 shown]
	v_fmac_f32_e32 v21, v38, v10
	v_fma_f32 v38, v38, v11, -v6
	v_fmac_f32_e32 v39, v32, v77
	v_fma_f32 v32, v32, v78, -v7
	v_mul_f32_e32 v6, v35, v18
	v_mul_f32_e32 v7, v29, v22
	;; [unrolled: 1-line block ×3, first 2 shown]
	v_fmac_f32_e32 v85, v40, v14
	v_fmac_f32_e32 v33, v34, v18
	v_mul_f32_e32 v35, v29, v23
	v_mul_f32_e32 v29, v31, v13
	v_fma_f32 v31, v34, v19, -v6
	v_fma_f32 v34, v28, v23, -v7
	v_fma_f32 v40, v30, v13, -v8
	v_mul_f32_e32 v7, v25, v79
	v_add_f32_e32 v8, v73, v83
	v_fmac_f32_e32 v29, v30, v12
	v_add_f32_e32 v6, v84, v85
	v_sub_f32_e32 v10, v83, v84
	v_fma_f32 v46, v24, v80, -v7
	v_add_f32_e32 v7, v8, v84
	v_sub_f32_e32 v12, v9, v85
	v_add_f32_e32 v14, v83, v9
	v_fma_f32 v6, -0.5, v6, v73
	v_sub_f32_e32 v11, v44, v16
	v_sub_f32_e32 v13, v45, v37
	v_mul_f32_e32 v15, v27, v81
	v_add_f32_e32 v7, v7, v85
	v_add_f32_e32 v17, v10, v12
	v_fma_f32 v10, -0.5, v14, v73
	v_fmamk_f32 v8, v11, 0xbf737871, v6
	v_fma_f32 v47, v26, v82, -v15
	v_add_f32_e32 v12, v7, v9
	v_fmac_f32_e32 v6, 0x3f737871, v11
	v_fmamk_f32 v14, v13, 0x3f737871, v10
	v_sub_f32_e32 v7, v84, v83
	v_sub_f32_e32 v15, v85, v9
	v_add_f32_e32 v18, v74, v44
	v_add_f32_e32 v19, v45, v37
	v_fmac_f32_e32 v10, 0xbf737871, v13
	v_fmac_f32_e32 v8, 0xbf167918, v13
	;; [unrolled: 1-line block ×4, first 2 shown]
	v_add_f32_e32 v15, v7, v15
	v_add_f32_e32 v13, v18, v45
	v_fma_f32 v7, -0.5, v19, v74
	v_sub_f32_e32 v19, v83, v9
	v_fmac_f32_e32 v10, 0x3f167918, v11
	v_add_f32_e32 v11, v44, v16
	v_mul_f32_e32 v43, v27, v82
	v_fmac_f32_e32 v8, 0x3e9e377a, v17
	v_fmac_f32_e32 v6, 0x3e9e377a, v17
	v_add_f32_e32 v13, v13, v37
	v_fmamk_f32 v9, v19, 0x3f737871, v7
	v_sub_f32_e32 v17, v84, v85
	v_sub_f32_e32 v18, v44, v45
	;; [unrolled: 1-line block ×3, first 2 shown]
	v_fma_f32 v11, -0.5, v11, v74
	v_fmac_f32_e32 v7, 0xbf737871, v19
	v_add_f32_e32 v23, v75, v41
	v_fmac_f32_e32 v35, v28, v22
	v_mul_f32_e32 v42, v25, v80
	v_fmac_f32_e32 v43, v26, v81
	v_fmac_f32_e32 v14, 0x3e9e377a, v15
	;; [unrolled: 1-line block ×3, first 2 shown]
	v_add_f32_e32 v13, v13, v16
	v_fmac_f32_e32 v9, 0x3f167918, v17
	v_add_f32_e32 v18, v18, v20
	v_fmamk_f32 v15, v17, 0xbf737871, v11
	v_sub_f32_e32 v20, v45, v44
	v_sub_f32_e32 v16, v37, v16
	v_add_f32_e32 v22, v21, v39
	v_fmac_f32_e32 v7, 0xbf167918, v17
	v_fmac_f32_e32 v11, 0x3f737871, v17
	v_add_f32_e32 v17, v23, v21
	v_add_f32_e32 v26, v41, v33
	v_fmac_f32_e32 v42, v24, v79
	v_fmac_f32_e32 v15, 0x3f167918, v19
	v_add_f32_e32 v20, v20, v16
	v_fma_f32 v16, -0.5, v22, v75
	v_sub_f32_e32 v24, v36, v31
	v_sub_f32_e32 v23, v38, v32
	;; [unrolled: 1-line block ×4, first 2 shown]
	v_fmac_f32_e32 v11, 0xbf167918, v19
	v_add_f32_e32 v17, v17, v39
	v_fma_f32 v75, -0.5, v26, v75
	v_fmac_f32_e32 v9, 0x3e9e377a, v18
	v_fmac_f32_e32 v7, 0x3e9e377a, v18
	;; [unrolled: 1-line block ×3, first 2 shown]
	v_fmamk_f32 v18, v24, 0xbf737871, v16
	v_add_f32_e32 v19, v22, v25
	v_fmac_f32_e32 v11, 0x3e9e377a, v20
	v_add_f32_e32 v20, v17, v33
	v_fmac_f32_e32 v16, 0x3f737871, v24
	v_fmamk_f32 v22, v23, 0x3f737871, v75
	v_sub_f32_e32 v17, v21, v41
	v_sub_f32_e32 v25, v39, v33
	v_add_f32_e32 v26, v76, v36
	v_add_f32_e32 v27, v38, v32
	v_fmac_f32_e32 v75, 0xbf737871, v23
	v_fmac_f32_e32 v18, 0xbf167918, v23
	;; [unrolled: 1-line block ×4, first 2 shown]
	v_add_f32_e32 v25, v17, v25
	v_add_f32_e32 v23, v26, v38
	v_fma_f32 v17, -0.5, v27, v76
	v_sub_f32_e32 v26, v41, v33
	v_fmac_f32_e32 v75, 0x3f167918, v24
	v_add_f32_e32 v24, v36, v31
	v_sub_f32_e32 v28, v36, v38
	v_sub_f32_e32 v30, v31, v32
	v_fmac_f32_e32 v18, 0x3e9e377a, v19
	v_fmac_f32_e32 v16, 0x3e9e377a, v19
	;; [unrolled: 1-line block ×3, first 2 shown]
	v_add_f32_e32 v23, v23, v32
	v_fmamk_f32 v19, v26, 0x3f737871, v17
	v_sub_f32_e32 v27, v21, v39
	v_fmac_f32_e32 v75, 0x3e9e377a, v25
	v_fmac_f32_e32 v76, -0.5, v24
	v_add_f32_e32 v25, v28, v30
	v_fmac_f32_e32 v17, 0xbf737871, v26
	v_sub_f32_e32 v24, v38, v36
	v_sub_f32_e32 v28, v32, v31
	v_add_f32_e32 v30, v29, v42
	v_add_f32_e32 v21, v23, v31
	v_fmac_f32_e32 v19, 0x3f167918, v27
	v_fmamk_f32 v23, v27, 0xbf737871, v76
	v_fmac_f32_e32 v17, 0xbf167918, v27
	v_add_f32_e32 v28, v24, v28
	v_fmac_f32_e32 v76, 0x3f737871, v27
	v_add_f32_e32 v27, v4, v35
	v_fma_f32 v24, -0.5, v30, v4
	v_sub_f32_e32 v31, v34, v47
	v_fmac_f32_e32 v19, 0x3e9e377a, v25
	v_fmac_f32_e32 v23, 0x3f167918, v26
	;; [unrolled: 1-line block ×4, first 2 shown]
	v_add_f32_e32 v25, v27, v29
	v_fmamk_f32 v26, v31, 0xbf737871, v24
	v_sub_f32_e32 v27, v40, v46
	v_sub_f32_e32 v30, v35, v29
	;; [unrolled: 1-line block ×3, first 2 shown]
	v_fmac_f32_e32 v24, 0x3f737871, v31
	v_add_f32_e32 v33, v35, v43
	v_add_f32_e32 v25, v25, v42
	v_fmac_f32_e32 v26, 0xbf167918, v27
	v_add_f32_e32 v30, v30, v32
	v_fmac_f32_e32 v24, 0x3f167918, v27
	v_fma_f32 v4, -0.5, v33, v4
	v_sub_f32_e32 v32, v29, v35
	v_sub_f32_e32 v33, v42, v43
	v_fmac_f32_e32 v23, 0x3e9e377a, v28
	v_fmac_f32_e32 v76, 0x3e9e377a, v28
	v_add_f32_e32 v28, v25, v43
	v_fmac_f32_e32 v26, 0x3e9e377a, v30
	v_fmac_f32_e32 v24, 0x3e9e377a, v30
	v_fmamk_f32 v30, v27, 0x3f737871, v4
	v_add_f32_e32 v25, v40, v46
	v_fmac_f32_e32 v4, 0xbf737871, v27
	v_add_f32_e32 v27, v5, v34
	v_add_f32_e32 v32, v32, v33
	;; [unrolled: 1-line block ×3, first 2 shown]
	v_fma_f32 v25, -0.5, v25, v5
	v_sub_f32_e32 v35, v35, v43
	v_fmac_f32_e32 v30, 0xbf167918, v31
	v_fmac_f32_e32 v4, 0x3f167918, v31
	v_add_f32_e32 v31, v27, v40
	v_sub_f32_e32 v29, v29, v42
	v_fmac_f32_e32 v5, -0.5, v33
	v_fmamk_f32 v27, v35, 0x3f737871, v25
	v_fmac_f32_e32 v30, 0x3e9e377a, v32
	v_fmac_f32_e32 v4, 0x3e9e377a, v32
	v_add_f32_e32 v32, v31, v46
	v_sub_f32_e32 v33, v34, v40
	v_sub_f32_e32 v36, v47, v46
	v_fmac_f32_e32 v25, 0xbf737871, v35
	v_fmamk_f32 v31, v29, 0xbf737871, v5
	v_sub_f32_e32 v34, v40, v34
	v_sub_f32_e32 v37, v46, v47
	v_fmac_f32_e32 v5, 0x3f737871, v29
	v_fmac_f32_e32 v27, 0x3f167918, v29
	v_add_f32_e32 v33, v33, v36
	v_fmac_f32_e32 v25, 0xbf167918, v29
	v_add_f32_e32 v34, v34, v37
	v_fmac_f32_e32 v5, 0xbf167918, v35
	v_fmac_f32_e32 v31, 0x3f167918, v35
	v_add_f32_e32 v29, v32, v47
	v_fmac_f32_e32 v27, 0x3e9e377a, v33
	v_fmac_f32_e32 v25, 0x3e9e377a, v33
	;; [unrolled: 1-line block ×4, first 2 shown]
	ds_write2_b64 v113, v[12:13], v[8:9] offset1:51
	ds_write2_b64 v113, v[14:15], v[10:11] offset0:102 offset1:153
	ds_write_b64 v113, v[6:7] offset:1632
	ds_write2_b64 v110, v[20:21], v[18:19] offset1:51
	ds_write2_b64 v110, v[22:23], v[75:76] offset0:102 offset1:153
	ds_write_b64 v110, v[16:17] offset:1632
	;; [unrolled: 3-line block ×3, first 2 shown]
	s_waitcnt lgkmcnt(0)
	s_barrier
	buffer_gl0_inv
	ds_read2_b64 v[4:7], v106 offset0:170 offset1:255
	ds_read2_b64 v[8:11], v2 offset0:126 offset1:211
	;; [unrolled: 1-line block ×5, first 2 shown]
	ds_read2_b64 v[24:27], v106 offset1:85
	ds_read2_b64 v[0:3], v1 offset0:82 offset1:167
	ds_read_b64 v[28:29], v106 offset:9520
	s_waitcnt lgkmcnt(7)
	v_mul_f32_e32 v30, v65, v7
	s_waitcnt lgkmcnt(6)
	v_mul_f32_e32 v33, v67, v8
	v_mul_f32_e32 v32, v67, v9
	;; [unrolled: 1-line block ×3, first 2 shown]
	s_waitcnt lgkmcnt(3)
	v_mul_f32_e32 v35, v53, v21
	v_mul_f32_e32 v34, v69, v15
	v_fma_f32 v33, v66, v9, -v33
	v_mul_f32_e32 v9, v53, v20
	v_fmac_f32_e32 v30, v64, v6
	v_fmac_f32_e32 v32, v66, v8
	v_mul_f32_e32 v6, v69, v14
	v_mul_f32_e32 v8, v71, v16
	v_fmac_f32_e32 v35, v52, v20
	v_fma_f32 v20, v52, v21, -v9
	s_waitcnt lgkmcnt(1)
	v_mul_f32_e32 v21, v61, v1
	v_fmac_f32_e32 v34, v68, v14
	v_fma_f32 v14, v68, v15, -v6
	v_fma_f32 v15, v70, v17, -v8
	v_mul_f32_e32 v6, v55, v10
	v_mul_f32_e32 v8, v61, v0
	v_fmac_f32_e32 v21, v60, v0
	v_mul_f32_e32 v0, v63, v18
	v_fma_f32 v31, v64, v7, -v31
	v_mul_f32_e32 v7, v71, v17
	v_fma_f32 v37, v54, v11, -v6
	v_fma_f32 v38, v60, v1, -v8
	v_mul_f32_e32 v1, v57, v22
	v_mul_f32_e32 v6, v59, v12
	v_fma_f32 v41, v62, v19, -v0
	v_add_f32_e32 v0, v32, v34
	v_fmac_f32_e32 v7, v70, v16
	v_mul_f32_e32 v17, v55, v11
	v_fma_f32 v42, v56, v23, -v1
	v_fma_f32 v43, v58, v13, -v6
	v_mul_f32_e32 v44, v49, v3
	v_mul_f32_e32 v1, v49, v2
	v_add_f32_e32 v6, v24, v30
	v_fma_f32 v0, -0.5, v0, v24
	v_sub_f32_e32 v9, v31, v15
	v_fmac_f32_e32 v17, v54, v10
	v_mul_f32_e32 v40, v59, v13
	v_fmac_f32_e32 v44, v48, v2
	v_fma_f32 v45, v48, v3, -v1
	v_add_f32_e32 v1, v6, v32
	v_fmamk_f32 v2, v9, 0xbf737871, v0
	v_sub_f32_e32 v3, v33, v14
	v_sub_f32_e32 v6, v30, v32
	;; [unrolled: 1-line block ×3, first 2 shown]
	v_add_f32_e32 v10, v30, v7
	v_fmac_f32_e32 v0, 0x3f737871, v9
	v_mul_f32_e32 v36, v63, v19
	v_fmac_f32_e32 v40, v58, v12
	s_waitcnt lgkmcnt(0)
	v_mul_f32_e32 v11, v51, v28
	v_add_f32_e32 v1, v1, v34
	v_fmac_f32_e32 v2, 0xbf167918, v3
	v_add_f32_e32 v12, v6, v8
	v_fma_f32 v6, -0.5, v10, v24
	v_fmac_f32_e32 v0, 0x3f167918, v3
	v_add_f32_e32 v13, v25, v31
	v_fmac_f32_e32 v36, v62, v18
	v_fma_f32 v46, v50, v29, -v11
	v_add_f32_e32 v8, v1, v7
	v_fmac_f32_e32 v2, 0x3e9e377a, v12
	v_fmamk_f32 v10, v3, 0x3f737871, v6
	v_sub_f32_e32 v1, v32, v30
	v_sub_f32_e32 v11, v34, v7
	v_add_f32_e32 v16, v33, v14
	v_fmac_f32_e32 v6, 0xbf737871, v3
	v_add_f32_e32 v3, v13, v33
	v_fmac_f32_e32 v0, 0x3e9e377a, v12
	v_sub_f32_e32 v12, v31, v33
	v_sub_f32_e32 v18, v15, v14
	v_fmac_f32_e32 v10, 0xbf167918, v9
	v_add_f32_e32 v11, v1, v11
	v_fma_f32 v1, -0.5, v16, v25
	v_sub_f32_e32 v13, v30, v7
	v_fmac_f32_e32 v6, 0x3f167918, v9
	v_add_f32_e32 v9, v3, v14
	v_add_f32_e32 v7, v31, v15
	;; [unrolled: 1-line block ×3, first 2 shown]
	v_sub_f32_e32 v12, v33, v31
	v_sub_f32_e32 v14, v14, v15
	v_fmamk_f32 v3, v13, 0x3f737871, v1
	v_sub_f32_e32 v16, v32, v34
	v_fma_f32 v7, -0.5, v7, v25
	v_add_f32_e32 v9, v9, v15
	v_fmac_f32_e32 v1, 0xbf737871, v13
	v_add_f32_e32 v15, v17, v21
	v_add_f32_e32 v19, v12, v14
	;; [unrolled: 1-line block ×3, first 2 shown]
	v_mul_f32_e32 v39, v57, v23
	v_fmac_f32_e32 v10, 0x3e9e377a, v11
	v_fmac_f32_e32 v6, 0x3e9e377a, v11
	;; [unrolled: 1-line block ×3, first 2 shown]
	v_fmamk_f32 v11, v16, 0xbf737871, v7
	v_fmac_f32_e32 v1, 0xbf167918, v16
	v_fma_f32 v12, -0.5, v15, v26
	v_sub_f32_e32 v15, v20, v41
	v_fmac_f32_e32 v7, 0x3f737871, v16
	v_add_f32_e32 v16, v14, v17
	v_add_f32_e32 v25, v35, v36
	v_fmac_f32_e32 v39, v56, v22
	v_mul_f32_e32 v23, v51, v29
	v_fmac_f32_e32 v3, 0x3e9e377a, v18
	v_fmac_f32_e32 v11, 0x3f167918, v13
	;; [unrolled: 1-line block ×3, first 2 shown]
	v_fmamk_f32 v14, v15, 0xbf737871, v12
	v_sub_f32_e32 v22, v37, v38
	v_sub_f32_e32 v18, v35, v17
	;; [unrolled: 1-line block ×3, first 2 shown]
	v_fmac_f32_e32 v7, 0xbf167918, v13
	v_add_f32_e32 v13, v16, v21
	v_fma_f32 v26, -0.5, v25, v26
	v_fmac_f32_e32 v12, 0x3f737871, v15
	v_add_f32_e32 v25, v27, v20
	v_fmac_f32_e32 v23, v50, v28
	v_fmac_f32_e32 v11, 0x3e9e377a, v19
	;; [unrolled: 1-line block ×3, first 2 shown]
	v_add_f32_e32 v24, v18, v24
	v_fmac_f32_e32 v7, 0x3e9e377a, v19
	v_add_f32_e32 v16, v13, v36
	v_fmamk_f32 v18, v22, 0x3f737871, v26
	v_sub_f32_e32 v13, v17, v35
	v_sub_f32_e32 v19, v21, v36
	v_fmac_f32_e32 v12, 0x3f167918, v22
	v_add_f32_e32 v28, v37, v38
	v_fmac_f32_e32 v26, 0xbf737871, v22
	v_add_f32_e32 v22, v25, v37
	;; [unrolled: 2-line block ×3, first 2 shown]
	v_fma_f32 v13, -0.5, v28, v27
	v_sub_f32_e32 v25, v35, v36
	v_fmac_f32_e32 v12, 0x3e9e377a, v24
	v_add_f32_e32 v22, v22, v38
	v_add_f32_e32 v24, v20, v41
	v_sub_f32_e32 v28, v20, v37
	v_sub_f32_e32 v29, v41, v38
	v_fmac_f32_e32 v18, 0xbf167918, v15
	v_fmac_f32_e32 v26, 0x3f167918, v15
	v_fmamk_f32 v15, v25, 0x3f737871, v13
	v_sub_f32_e32 v21, v17, v21
	v_fmac_f32_e32 v27, -0.5, v24
	v_add_f32_e32 v17, v22, v41
	v_add_f32_e32 v22, v28, v29
	v_fmac_f32_e32 v13, 0xbf737871, v25
	v_sub_f32_e32 v20, v37, v20
	v_sub_f32_e32 v24, v38, v41
	v_add_f32_e32 v28, v40, v44
	v_fmac_f32_e32 v18, 0x3e9e377a, v19
	v_fmac_f32_e32 v26, 0x3e9e377a, v19
	;; [unrolled: 1-line block ×3, first 2 shown]
	v_fmamk_f32 v19, v21, 0xbf737871, v27
	v_fmac_f32_e32 v13, 0xbf167918, v21
	v_add_f32_e32 v24, v20, v24
	v_fmac_f32_e32 v27, 0x3f737871, v21
	v_fma_f32 v20, -0.5, v28, v4
	v_sub_f32_e32 v29, v42, v46
	v_add_f32_e32 v21, v4, v39
	v_fmac_f32_e32 v15, 0x3e9e377a, v22
	v_fmac_f32_e32 v19, 0x3f167918, v25
	v_fmac_f32_e32 v13, 0x3e9e377a, v22
	v_fmac_f32_e32 v27, 0xbf167918, v25
	v_fmamk_f32 v22, v29, 0xbf737871, v20
	v_sub_f32_e32 v25, v43, v45
	v_sub_f32_e32 v28, v39, v40
	;; [unrolled: 1-line block ×3, first 2 shown]
	v_fmac_f32_e32 v20, 0x3f737871, v29
	v_add_f32_e32 v31, v39, v23
	v_add_f32_e32 v21, v21, v40
	v_fmac_f32_e32 v22, 0xbf167918, v25
	v_add_f32_e32 v28, v28, v30
	v_fmac_f32_e32 v20, 0x3f167918, v25
	v_fma_f32 v4, -0.5, v31, v4
	v_add_f32_e32 v21, v21, v44
	v_fmac_f32_e32 v19, 0x3e9e377a, v24
	v_fmac_f32_e32 v22, 0x3e9e377a, v28
	v_fmac_f32_e32 v20, 0x3e9e377a, v28
	v_fmamk_f32 v28, v25, 0x3f737871, v4
	v_fmac_f32_e32 v4, 0xbf737871, v25
	v_fmac_f32_e32 v27, 0x3e9e377a, v24
	v_add_f32_e32 v24, v21, v23
	v_add_f32_e32 v21, v5, v42
	;; [unrolled: 1-line block ×3, first 2 shown]
	v_sub_f32_e32 v31, v40, v39
	v_sub_f32_e32 v32, v44, v23
	v_fmac_f32_e32 v28, 0xbf167918, v29
	v_fmac_f32_e32 v4, 0x3f167918, v29
	v_add_f32_e32 v29, v42, v46
	v_add_f32_e32 v25, v21, v43
	v_fma_f32 v21, -0.5, v30, v5
	v_sub_f32_e32 v30, v39, v23
	v_add_f32_e32 v31, v31, v32
	v_sub_f32_e32 v32, v40, v44
	v_fmac_f32_e32 v5, -0.5, v29
	v_sub_f32_e32 v33, v46, v45
	v_fmamk_f32 v23, v30, 0x3f737871, v21
	v_fmac_f32_e32 v28, 0x3e9e377a, v31
	v_fmac_f32_e32 v4, 0x3e9e377a, v31
	v_sub_f32_e32 v31, v42, v43
	v_fmac_f32_e32 v21, 0xbf737871, v30
	v_fmamk_f32 v29, v32, 0xbf737871, v5
	v_fmac_f32_e32 v5, 0x3f737871, v32
	v_fmac_f32_e32 v23, 0x3f167918, v32
	v_sub_f32_e32 v34, v43, v42
	v_sub_f32_e32 v35, v45, v46
	v_add_f32_e32 v31, v31, v33
	v_fmac_f32_e32 v21, 0xbf167918, v32
	v_fmac_f32_e32 v29, 0x3f167918, v30
	v_fmac_f32_e32 v5, 0xbf167918, v30
	v_add_nc_u32_e32 v30, 0x7f8, v107
	v_add_f32_e32 v25, v25, v45
	v_add_f32_e32 v32, v34, v35
	v_fmac_f32_e32 v23, 0x3e9e377a, v31
	v_fmac_f32_e32 v21, 0x3e9e377a, v31
	v_add_nc_u32_e32 v31, 0x17e8, v107
	ds_write_b64 v116, v[8:9]
	ds_write2_b64 v30, v[2:3], v[10:11] offset1:255
	v_add_nc_u32_e32 v2, 0x7f8, v118
	v_add_nc_u32_e32 v3, 0x17e8, v118
	v_add_f32_e32 v25, v25, v46
	v_fmac_f32_e32 v29, 0x3e9e377a, v32
	ds_write2_b64 v31, v[6:7], v[0:1] offset1:255
	v_add_nc_u32_e32 v0, 0x7f8, v117
	v_fmac_f32_e32 v5, 0x3e9e377a, v32
	v_add_nc_u32_e32 v1, 0x17e8, v117
	ds_write2_b64 v2, v[14:15], v[18:19] offset1:255
	ds_write2_b64 v3, v[26:27], v[12:13] offset1:255
	ds_write2_b64 v107, v[16:17], v[24:25] offset0:85 offset1:170
	ds_write2_b64 v0, v[22:23], v[28:29] offset1:255
	ds_write2_b64 v1, v[4:5], v[20:21] offset1:255
	s_waitcnt lgkmcnt(0)
	s_barrier
	buffer_gl0_inv
	s_and_b32 exec_lo, exec_lo, vcc_lo
	s_cbranch_execz .LBB0_15
; %bb.14:
	global_load_dwordx2 v[0:1], v103, s[12:13]
	ds_read_b64 v[2:3], v116
	s_mov_b32 s0, 0xe68019b3
	s_mov_b32 s1, 0x3f49b34c
	v_mad_u64_u32 v[6:7], null, s4, v104, 0
	s_mul_i32 s2, s5, 0x258
	s_mul_i32 s3, s4, 0x258
	s_waitcnt vmcnt(0) lgkmcnt(0)
	v_mul_f32_e32 v4, v3, v1
	v_mul_f32_e32 v1, v2, v1
	v_fmac_f32_e32 v4, v2, v0
	v_fma_f32 v2, v0, v3, -v1
	v_cvt_f64_f32_e32 v[0:1], v4
	v_cvt_f64_f32_e32 v[2:3], v2
	v_mad_u64_u32 v[4:5], null, s6, v100, 0
	v_mad_u64_u32 v[8:9], null, s7, v100, v[5:6]
	;; [unrolled: 1-line block ×3, first 2 shown]
	v_mov_b32_e32 v5, v8
	s_mul_hi_u32 s5, s4, 0x258
	v_mul_f64 v[0:1], v[0:1], s[0:1]
	v_mul_f64 v[2:3], v[2:3], s[0:1]
	s_add_i32 s2, s5, s2
	v_add_co_u32 v10, s4, s12, v103
	v_mov_b32_e32 v7, v9
	v_add_co_ci_u32_e64 v11, null, s13, 0, s4
	v_cvt_f32_f64_e32 v0, v[0:1]
	v_cvt_f32_f64_e32 v1, v[2:3]
	v_lshlrev_b64 v[2:3], 3, v[4:5]
	v_lshlrev_b64 v[4:5], 3, v[6:7]
	v_add_co_u32 v2, vcc_lo, s14, v2
	v_add_co_ci_u32_e32 v3, vcc_lo, s15, v3, vcc_lo
	v_add_co_u32 v4, vcc_lo, v2, v4
	v_add_co_ci_u32_e32 v5, vcc_lo, v3, v5, vcc_lo
	global_store_dwordx2 v[4:5], v[0:1], off
	global_load_dwordx2 v[6:7], v103, s[12:13] offset:600
	ds_read2_b64 v[0:3], v107 offset0:75 offset1:150
	v_add_co_u32 v4, vcc_lo, v4, s3
	v_add_co_ci_u32_e32 v5, vcc_lo, s2, v5, vcc_lo
	s_waitcnt vmcnt(0) lgkmcnt(0)
	v_mul_f32_e32 v8, v1, v7
	v_mul_f32_e32 v7, v0, v7
	v_fmac_f32_e32 v8, v0, v6
	v_fma_f32 v6, v6, v1, -v7
	v_cvt_f64_f32_e32 v[0:1], v8
	v_cvt_f64_f32_e32 v[6:7], v6
	v_mul_f64 v[0:1], v[0:1], s[0:1]
	v_mul_f64 v[6:7], v[6:7], s[0:1]
	v_cvt_f32_f64_e32 v0, v[0:1]
	v_cvt_f32_f64_e32 v1, v[6:7]
	global_store_dwordx2 v[4:5], v[0:1], off
	global_load_dwordx2 v[0:1], v103, s[12:13] offset:1200
	v_add_co_u32 v4, vcc_lo, v4, s3
	v_add_co_ci_u32_e32 v5, vcc_lo, s2, v5, vcc_lo
	s_waitcnt vmcnt(0)
	v_mul_f32_e32 v6, v3, v1
	v_mul_f32_e32 v1, v2, v1
	v_fmac_f32_e32 v6, v2, v0
	v_fma_f32 v2, v0, v3, -v1
	v_cvt_f64_f32_e32 v[0:1], v6
	v_cvt_f64_f32_e32 v[2:3], v2
	v_mul_f64 v[0:1], v[0:1], s[0:1]
	v_mul_f64 v[2:3], v[2:3], s[0:1]
	v_cvt_f32_f64_e32 v0, v[0:1]
	v_cvt_f32_f64_e32 v1, v[2:3]
	global_store_dwordx2 v[4:5], v[0:1], off
	global_load_dwordx2 v[6:7], v103, s[12:13] offset:1800
	v_add_nc_u32_e32 v0, 0x400, v107
	v_add_co_u32 v4, vcc_lo, v4, s3
	v_add_co_ci_u32_e32 v5, vcc_lo, s2, v5, vcc_lo
	ds_read2_b64 v[0:3], v0 offset0:97 offset1:172
	s_waitcnt vmcnt(0) lgkmcnt(0)
	v_mul_f32_e32 v8, v1, v7
	v_mul_f32_e32 v7, v0, v7
	v_fmac_f32_e32 v8, v0, v6
	v_fma_f32 v6, v6, v1, -v7
	v_cvt_f64_f32_e32 v[0:1], v8
	v_cvt_f64_f32_e32 v[6:7], v6
	v_mul_f64 v[0:1], v[0:1], s[0:1]
	v_mul_f64 v[6:7], v[6:7], s[0:1]
	v_cvt_f32_f64_e32 v0, v[0:1]
	v_cvt_f32_f64_e32 v1, v[6:7]
	v_add_co_u32 v6, vcc_lo, 0x800, v10
	v_add_co_ci_u32_e32 v7, vcc_lo, 0, v11, vcc_lo
	global_store_dwordx2 v[4:5], v[0:1], off
	global_load_dwordx2 v[0:1], v[6:7], off offset:352
	v_add_co_u32 v4, vcc_lo, v4, s3
	v_add_co_ci_u32_e32 v5, vcc_lo, s2, v5, vcc_lo
	s_waitcnt vmcnt(0)
	v_mul_f32_e32 v8, v3, v1
	v_mul_f32_e32 v1, v2, v1
	v_fmac_f32_e32 v8, v2, v0
	v_fma_f32 v2, v0, v3, -v1
	v_cvt_f64_f32_e32 v[0:1], v8
	v_cvt_f64_f32_e32 v[2:3], v2
	v_mul_f64 v[0:1], v[0:1], s[0:1]
	v_mul_f64 v[2:3], v[2:3], s[0:1]
	v_cvt_f32_f64_e32 v0, v[0:1]
	v_cvt_f32_f64_e32 v1, v[2:3]
	global_store_dwordx2 v[4:5], v[0:1], off
	global_load_dwordx2 v[8:9], v[6:7], off offset:952
	v_add_nc_u32_e32 v0, 0x800, v107
	v_add_co_u32 v4, vcc_lo, v4, s3
	v_add_co_ci_u32_e32 v5, vcc_lo, s2, v5, vcc_lo
	ds_read2_b64 v[0:3], v0 offset0:119 offset1:194
	s_waitcnt vmcnt(0) lgkmcnt(0)
	v_mul_f32_e32 v12, v1, v9
	v_mul_f32_e32 v9, v0, v9
	v_fmac_f32_e32 v12, v0, v8
	v_fma_f32 v8, v8, v1, -v9
	v_cvt_f64_f32_e32 v[0:1], v12
	v_cvt_f64_f32_e32 v[8:9], v8
	v_add_nc_u32_e32 v12, 0x1000, v107
	v_mul_f64 v[0:1], v[0:1], s[0:1]
	v_mul_f64 v[8:9], v[8:9], s[0:1]
	v_cvt_f32_f64_e32 v0, v[0:1]
	v_cvt_f32_f64_e32 v1, v[8:9]
	global_store_dwordx2 v[4:5], v[0:1], off
	global_load_dwordx2 v[0:1], v[6:7], off offset:1552
	v_add_co_u32 v4, vcc_lo, v4, s3
	v_add_co_ci_u32_e32 v5, vcc_lo, s2, v5, vcc_lo
	s_waitcnt vmcnt(0)
	v_mul_f32_e32 v6, v3, v1
	v_mul_f32_e32 v1, v2, v1
	v_fmac_f32_e32 v6, v2, v0
	v_fma_f32 v2, v0, v3, -v1
	v_cvt_f64_f32_e32 v[0:1], v6
	v_cvt_f64_f32_e32 v[2:3], v2
	v_add_co_u32 v6, vcc_lo, 0x1000, v10
	v_add_co_ci_u32_e32 v7, vcc_lo, 0, v11, vcc_lo
	v_mul_f64 v[0:1], v[0:1], s[0:1]
	v_mul_f64 v[2:3], v[2:3], s[0:1]
	v_cvt_f32_f64_e32 v0, v[0:1]
	v_cvt_f32_f64_e32 v1, v[2:3]
	global_store_dwordx2 v[4:5], v[0:1], off
	global_load_dwordx2 v[8:9], v[6:7], off offset:104
	ds_read2_b64 v[0:3], v12 offset0:13 offset1:88
	v_add_co_u32 v4, vcc_lo, v4, s3
	v_add_co_ci_u32_e32 v5, vcc_lo, s2, v5, vcc_lo
	s_waitcnt vmcnt(0) lgkmcnt(0)
	v_mul_f32_e32 v13, v1, v9
	v_mul_f32_e32 v9, v0, v9
	v_fmac_f32_e32 v13, v0, v8
	v_fma_f32 v8, v8, v1, -v9
	v_cvt_f64_f32_e32 v[0:1], v13
	v_cvt_f64_f32_e32 v[8:9], v8
	v_mul_f64 v[0:1], v[0:1], s[0:1]
	v_mul_f64 v[8:9], v[8:9], s[0:1]
	v_cvt_f32_f64_e32 v0, v[0:1]
	v_cvt_f32_f64_e32 v1, v[8:9]
	global_store_dwordx2 v[4:5], v[0:1], off
	global_load_dwordx2 v[0:1], v[6:7], off offset:704
	v_add_co_u32 v4, vcc_lo, v4, s3
	v_add_co_ci_u32_e32 v5, vcc_lo, s2, v5, vcc_lo
	s_waitcnt vmcnt(0)
	v_mul_f32_e32 v8, v3, v1
	v_mul_f32_e32 v1, v2, v1
	v_fmac_f32_e32 v8, v2, v0
	v_fma_f32 v2, v0, v3, -v1
	v_cvt_f64_f32_e32 v[0:1], v8
	v_cvt_f64_f32_e32 v[2:3], v2
	v_mul_f64 v[0:1], v[0:1], s[0:1]
	v_mul_f64 v[2:3], v[2:3], s[0:1]
	v_cvt_f32_f64_e32 v0, v[0:1]
	v_cvt_f32_f64_e32 v1, v[2:3]
	global_store_dwordx2 v[4:5], v[0:1], off
	global_load_dwordx2 v[8:9], v[6:7], off offset:1304
	ds_read2_b64 v[0:3], v12 offset0:163 offset1:238
	v_add_co_u32 v4, vcc_lo, v4, s3
	v_add_co_ci_u32_e32 v5, vcc_lo, s2, v5, vcc_lo
	s_waitcnt vmcnt(0) lgkmcnt(0)
	v_mul_f32_e32 v12, v1, v9
	v_mul_f32_e32 v9, v0, v9
	v_fmac_f32_e32 v12, v0, v8
	v_fma_f32 v8, v8, v1, -v9
	v_cvt_f64_f32_e32 v[0:1], v12
	v_cvt_f64_f32_e32 v[8:9], v8
	v_mul_f64 v[0:1], v[0:1], s[0:1]
	v_mul_f64 v[8:9], v[8:9], s[0:1]
	v_cvt_f32_f64_e32 v0, v[0:1]
	v_cvt_f32_f64_e32 v1, v[8:9]
	global_store_dwordx2 v[4:5], v[0:1], off
	global_load_dwordx2 v[0:1], v[6:7], off offset:1904
	v_add_co_u32 v4, vcc_lo, v4, s3
	v_add_co_ci_u32_e32 v5, vcc_lo, s2, v5, vcc_lo
	s_waitcnt vmcnt(0)
	v_mul_f32_e32 v6, v3, v1
	v_mul_f32_e32 v1, v2, v1
	v_fmac_f32_e32 v6, v2, v0
	v_fma_f32 v2, v0, v3, -v1
	v_cvt_f64_f32_e32 v[0:1], v6
	v_cvt_f64_f32_e32 v[2:3], v2
	v_add_co_u32 v6, vcc_lo, 0x1800, v10
	v_add_co_ci_u32_e32 v7, vcc_lo, 0, v11, vcc_lo
	v_mul_f64 v[0:1], v[0:1], s[0:1]
	v_mul_f64 v[2:3], v[2:3], s[0:1]
	v_cvt_f32_f64_e32 v0, v[0:1]
	v_cvt_f32_f64_e32 v1, v[2:3]
	global_store_dwordx2 v[4:5], v[0:1], off
	global_load_dwordx2 v[8:9], v[6:7], off offset:456
	v_add_nc_u32_e32 v0, 0x1800, v107
	v_add_co_u32 v4, vcc_lo, v4, s3
	v_add_co_ci_u32_e32 v5, vcc_lo, s2, v5, vcc_lo
	ds_read2_b64 v[0:3], v0 offset0:57 offset1:132
	s_waitcnt vmcnt(0) lgkmcnt(0)
	v_mul_f32_e32 v12, v1, v9
	v_mul_f32_e32 v9, v0, v9
	v_fmac_f32_e32 v12, v0, v8
	v_fma_f32 v8, v8, v1, -v9
	v_cvt_f64_f32_e32 v[0:1], v12
	v_cvt_f64_f32_e32 v[8:9], v8
	v_mul_f64 v[0:1], v[0:1], s[0:1]
	v_mul_f64 v[8:9], v[8:9], s[0:1]
	v_cvt_f32_f64_e32 v0, v[0:1]
	v_cvt_f32_f64_e32 v1, v[8:9]
	global_store_dwordx2 v[4:5], v[0:1], off
	global_load_dwordx2 v[0:1], v[6:7], off offset:1056
	v_add_co_u32 v4, vcc_lo, v4, s3
	v_add_co_ci_u32_e32 v5, vcc_lo, s2, v5, vcc_lo
	s_waitcnt vmcnt(0)
	v_mul_f32_e32 v8, v3, v1
	v_mul_f32_e32 v1, v2, v1
	v_fmac_f32_e32 v8, v2, v0
	v_fma_f32 v2, v0, v3, -v1
	v_cvt_f64_f32_e32 v[0:1], v8
	v_cvt_f64_f32_e32 v[2:3], v2
	v_mul_f64 v[0:1], v[0:1], s[0:1]
	v_mul_f64 v[2:3], v[2:3], s[0:1]
	v_cvt_f32_f64_e32 v0, v[0:1]
	v_cvt_f32_f64_e32 v1, v[2:3]
	global_store_dwordx2 v[4:5], v[0:1], off
	global_load_dwordx2 v[6:7], v[6:7], off offset:1656
	v_add_nc_u32_e32 v0, 0x1c00, v107
	v_add_co_u32 v4, vcc_lo, v4, s3
	v_add_co_ci_u32_e32 v5, vcc_lo, s2, v5, vcc_lo
	ds_read2_b64 v[0:3], v0 offset0:79 offset1:154
	s_waitcnt vmcnt(0) lgkmcnt(0)
	v_mul_f32_e32 v8, v1, v7
	v_mul_f32_e32 v7, v0, v7
	v_fmac_f32_e32 v8, v0, v6
	v_fma_f32 v6, v6, v1, -v7
	v_cvt_f64_f32_e32 v[0:1], v8
	v_cvt_f64_f32_e32 v[6:7], v6
	v_mul_f64 v[0:1], v[0:1], s[0:1]
	v_mul_f64 v[6:7], v[6:7], s[0:1]
	v_cvt_f32_f64_e32 v0, v[0:1]
	v_cvt_f32_f64_e32 v1, v[6:7]
	v_add_co_u32 v6, vcc_lo, 0x2000, v10
	v_add_co_ci_u32_e32 v7, vcc_lo, 0, v11, vcc_lo
	global_store_dwordx2 v[4:5], v[0:1], off
	global_load_dwordx2 v[0:1], v[6:7], off offset:208
	v_add_co_u32 v4, vcc_lo, v4, s3
	v_add_co_ci_u32_e32 v5, vcc_lo, s2, v5, vcc_lo
	s_waitcnt vmcnt(0)
	v_mul_f32_e32 v8, v3, v1
	v_mul_f32_e32 v1, v2, v1
	v_fmac_f32_e32 v8, v2, v0
	v_fma_f32 v2, v0, v3, -v1
	v_cvt_f64_f32_e32 v[0:1], v8
	v_cvt_f64_f32_e32 v[2:3], v2
	v_mul_f64 v[0:1], v[0:1], s[0:1]
	v_mul_f64 v[2:3], v[2:3], s[0:1]
	v_cvt_f32_f64_e32 v0, v[0:1]
	v_cvt_f32_f64_e32 v1, v[2:3]
	global_store_dwordx2 v[4:5], v[0:1], off
	global_load_dwordx2 v[8:9], v[6:7], off offset:808
	v_add_nc_u32_e32 v0, 0x2000, v107
	v_add_co_u32 v4, vcc_lo, v4, s3
	v_add_co_ci_u32_e32 v5, vcc_lo, s2, v5, vcc_lo
	ds_read2_b64 v[0:3], v0 offset0:101 offset1:176
	s_waitcnt vmcnt(0) lgkmcnt(0)
	v_mul_f32_e32 v10, v1, v9
	v_mul_f32_e32 v9, v0, v9
	v_fmac_f32_e32 v10, v0, v8
	v_fma_f32 v8, v8, v1, -v9
	v_cvt_f64_f32_e32 v[0:1], v10
	v_cvt_f64_f32_e32 v[8:9], v8
	v_mul_f64 v[0:1], v[0:1], s[0:1]
	v_mul_f64 v[8:9], v[8:9], s[0:1]
	v_cvt_f32_f64_e32 v0, v[0:1]
	v_cvt_f32_f64_e32 v1, v[8:9]
	global_store_dwordx2 v[4:5], v[0:1], off
	global_load_dwordx2 v[0:1], v[6:7], off offset:1408
	s_waitcnt vmcnt(0)
	v_mul_f32_e32 v6, v3, v1
	v_mul_f32_e32 v1, v2, v1
	v_fmac_f32_e32 v6, v2, v0
	v_fma_f32 v2, v0, v3, -v1
	v_cvt_f64_f32_e32 v[0:1], v6
	v_cvt_f64_f32_e32 v[2:3], v2
	v_mul_f64 v[0:1], v[0:1], s[0:1]
	v_mul_f64 v[2:3], v[2:3], s[0:1]
	v_cvt_f32_f64_e32 v0, v[0:1]
	v_cvt_f32_f64_e32 v1, v[2:3]
	v_add_co_u32 v2, vcc_lo, v4, s3
	v_add_co_ci_u32_e32 v3, vcc_lo, s2, v5, vcc_lo
	global_store_dwordx2 v[2:3], v[0:1], off
.LBB0_15:
	s_endpgm
	.section	.rodata,"a",@progbits
	.p2align	6, 0x0
	.amdhsa_kernel bluestein_single_back_len1275_dim1_sp_op_CI_CI
		.amdhsa_group_segment_fixed_size 30600
		.amdhsa_private_segment_fixed_size 0
		.amdhsa_kernarg_size 104
		.amdhsa_user_sgpr_count 6
		.amdhsa_user_sgpr_private_segment_buffer 1
		.amdhsa_user_sgpr_dispatch_ptr 0
		.amdhsa_user_sgpr_queue_ptr 0
		.amdhsa_user_sgpr_kernarg_segment_ptr 1
		.amdhsa_user_sgpr_dispatch_id 0
		.amdhsa_user_sgpr_flat_scratch_init 0
		.amdhsa_user_sgpr_private_segment_size 0
		.amdhsa_wavefront_size32 1
		.amdhsa_uses_dynamic_stack 0
		.amdhsa_system_sgpr_private_segment_wavefront_offset 0
		.amdhsa_system_sgpr_workgroup_id_x 1
		.amdhsa_system_sgpr_workgroup_id_y 0
		.amdhsa_system_sgpr_workgroup_id_z 0
		.amdhsa_system_sgpr_workgroup_info 0
		.amdhsa_system_vgpr_workitem_id 0
		.amdhsa_next_free_vgpr 253
		.amdhsa_next_free_sgpr 16
		.amdhsa_reserve_vcc 1
		.amdhsa_reserve_flat_scratch 0
		.amdhsa_float_round_mode_32 0
		.amdhsa_float_round_mode_16_64 0
		.amdhsa_float_denorm_mode_32 3
		.amdhsa_float_denorm_mode_16_64 3
		.amdhsa_dx10_clamp 1
		.amdhsa_ieee_mode 1
		.amdhsa_fp16_overflow 0
		.amdhsa_workgroup_processor_mode 1
		.amdhsa_memory_ordered 1
		.amdhsa_forward_progress 0
		.amdhsa_shared_vgpr_count 0
		.amdhsa_exception_fp_ieee_invalid_op 0
		.amdhsa_exception_fp_denorm_src 0
		.amdhsa_exception_fp_ieee_div_zero 0
		.amdhsa_exception_fp_ieee_overflow 0
		.amdhsa_exception_fp_ieee_underflow 0
		.amdhsa_exception_fp_ieee_inexact 0
		.amdhsa_exception_int_div_zero 0
	.end_amdhsa_kernel
	.text
.Lfunc_end0:
	.size	bluestein_single_back_len1275_dim1_sp_op_CI_CI, .Lfunc_end0-bluestein_single_back_len1275_dim1_sp_op_CI_CI
                                        ; -- End function
	.section	.AMDGPU.csdata,"",@progbits
; Kernel info:
; codeLenInByte = 22456
; NumSgprs: 18
; NumVgprs: 253
; ScratchSize: 0
; MemoryBound: 0
; FloatMode: 240
; IeeeMode: 1
; LDSByteSize: 30600 bytes/workgroup (compile time only)
; SGPRBlocks: 2
; VGPRBlocks: 31
; NumSGPRsForWavesPerEU: 18
; NumVGPRsForWavesPerEU: 253
; Occupancy: 4
; WaveLimiterHint : 1
; COMPUTE_PGM_RSRC2:SCRATCH_EN: 0
; COMPUTE_PGM_RSRC2:USER_SGPR: 6
; COMPUTE_PGM_RSRC2:TRAP_HANDLER: 0
; COMPUTE_PGM_RSRC2:TGID_X_EN: 1
; COMPUTE_PGM_RSRC2:TGID_Y_EN: 0
; COMPUTE_PGM_RSRC2:TGID_Z_EN: 0
; COMPUTE_PGM_RSRC2:TIDIG_COMP_CNT: 0
	.text
	.p2alignl 6, 3214868480
	.fill 48, 4, 3214868480
	.type	__hip_cuid_13eddab84225b264,@object ; @__hip_cuid_13eddab84225b264
	.section	.bss,"aw",@nobits
	.globl	__hip_cuid_13eddab84225b264
__hip_cuid_13eddab84225b264:
	.byte	0                               ; 0x0
	.size	__hip_cuid_13eddab84225b264, 1

	.ident	"AMD clang version 19.0.0git (https://github.com/RadeonOpenCompute/llvm-project roc-6.4.0 25133 c7fe45cf4b819c5991fe208aaa96edf142730f1d)"
	.section	".note.GNU-stack","",@progbits
	.addrsig
	.addrsig_sym __hip_cuid_13eddab84225b264
	.amdgpu_metadata
---
amdhsa.kernels:
  - .args:
      - .actual_access:  read_only
        .address_space:  global
        .offset:         0
        .size:           8
        .value_kind:     global_buffer
      - .actual_access:  read_only
        .address_space:  global
        .offset:         8
        .size:           8
        .value_kind:     global_buffer
      - .actual_access:  read_only
        .address_space:  global
        .offset:         16
        .size:           8
        .value_kind:     global_buffer
      - .actual_access:  read_only
        .address_space:  global
        .offset:         24
        .size:           8
        .value_kind:     global_buffer
      - .actual_access:  read_only
        .address_space:  global
        .offset:         32
        .size:           8
        .value_kind:     global_buffer
      - .offset:         40
        .size:           8
        .value_kind:     by_value
      - .address_space:  global
        .offset:         48
        .size:           8
        .value_kind:     global_buffer
      - .address_space:  global
        .offset:         56
        .size:           8
        .value_kind:     global_buffer
      - .address_space:  global
        .offset:         64
        .size:           8
        .value_kind:     global_buffer
      - .address_space:  global
        .offset:         72
        .size:           8
        .value_kind:     global_buffer
      - .offset:         80
        .size:           4
        .value_kind:     by_value
      - .address_space:  global
        .offset:         88
        .size:           8
        .value_kind:     global_buffer
      - .address_space:  global
        .offset:         96
        .size:           8
        .value_kind:     global_buffer
    .group_segment_fixed_size: 30600
    .kernarg_segment_align: 8
    .kernarg_segment_size: 104
    .language:       OpenCL C
    .language_version:
      - 2
      - 0
    .max_flat_workgroup_size: 255
    .name:           bluestein_single_back_len1275_dim1_sp_op_CI_CI
    .private_segment_fixed_size: 0
    .sgpr_count:     18
    .sgpr_spill_count: 0
    .symbol:         bluestein_single_back_len1275_dim1_sp_op_CI_CI.kd
    .uniform_work_group_size: 1
    .uses_dynamic_stack: false
    .vgpr_count:     253
    .vgpr_spill_count: 0
    .wavefront_size: 32
    .workgroup_processor_mode: 1
amdhsa.target:   amdgcn-amd-amdhsa--gfx1030
amdhsa.version:
  - 1
  - 2
...

	.end_amdgpu_metadata
